;; amdgpu-corpus repo=ROCm/rocFFT kind=compiled arch=gfx906 opt=O3
	.text
	.amdgcn_target "amdgcn-amd-amdhsa--gfx906"
	.amdhsa_code_object_version 6
	.protected	fft_rtc_fwd_len2028_factors_13_4_3_13_wgs_156_tpt_156_sp_ip_CI_sbrr_dirReg ; -- Begin function fft_rtc_fwd_len2028_factors_13_4_3_13_wgs_156_tpt_156_sp_ip_CI_sbrr_dirReg
	.globl	fft_rtc_fwd_len2028_factors_13_4_3_13_wgs_156_tpt_156_sp_ip_CI_sbrr_dirReg
	.p2align	8
	.type	fft_rtc_fwd_len2028_factors_13_4_3_13_wgs_156_tpt_156_sp_ip_CI_sbrr_dirReg,@function
fft_rtc_fwd_len2028_factors_13_4_3_13_wgs_156_tpt_156_sp_ip_CI_sbrr_dirReg: ; @fft_rtc_fwd_len2028_factors_13_4_3_13_wgs_156_tpt_156_sp_ip_CI_sbrr_dirReg
; %bb.0:
	s_load_dwordx2 s[14:15], s[4:5], 0x18
	s_load_dwordx4 s[8:11], s[4:5], 0x0
	s_load_dwordx2 s[12:13], s[4:5], 0x50
	v_mul_u32_u24_e32 v1, 0x1a5, v0
	v_add_u32_sdwa v5, s6, v1 dst_sel:DWORD dst_unused:UNUSED_PAD src0_sel:DWORD src1_sel:WORD_1
	s_waitcnt lgkmcnt(0)
	s_load_dwordx2 s[2:3], s[14:15], 0x0
	v_cmp_lt_u64_e64 s[0:1], s[10:11], 2
	v_mov_b32_e32 v3, 0
	v_mov_b32_e32 v1, 0
	;; [unrolled: 1-line block ×3, first 2 shown]
	s_and_b64 vcc, exec, s[0:1]
	v_mov_b32_e32 v2, 0
	s_cbranch_vccnz .LBB0_8
; %bb.1:
	s_load_dwordx2 s[0:1], s[4:5], 0x10
	s_add_u32 s6, s14, 8
	s_addc_u32 s7, s15, 0
	v_mov_b32_e32 v1, 0
	v_mov_b32_e32 v2, 0
	s_waitcnt lgkmcnt(0)
	s_add_u32 s16, s0, 8
	s_addc_u32 s17, s1, 0
	s_mov_b64 s[18:19], 1
.LBB0_2:                                ; =>This Inner Loop Header: Depth=1
	s_load_dwordx2 s[20:21], s[16:17], 0x0
                                        ; implicit-def: $vgpr7_vgpr8
	s_waitcnt lgkmcnt(0)
	v_or_b32_e32 v4, s21, v6
	v_cmp_ne_u64_e32 vcc, 0, v[3:4]
	s_and_saveexec_b64 s[0:1], vcc
	s_xor_b64 s[22:23], exec, s[0:1]
	s_cbranch_execz .LBB0_4
; %bb.3:                                ;   in Loop: Header=BB0_2 Depth=1
	v_cvt_f32_u32_e32 v4, s20
	v_cvt_f32_u32_e32 v7, s21
	s_sub_u32 s0, 0, s20
	s_subb_u32 s1, 0, s21
	v_mac_f32_e32 v4, 0x4f800000, v7
	v_rcp_f32_e32 v4, v4
	v_mul_f32_e32 v4, 0x5f7ffffc, v4
	v_mul_f32_e32 v7, 0x2f800000, v4
	v_trunc_f32_e32 v7, v7
	v_mac_f32_e32 v4, 0xcf800000, v7
	v_cvt_u32_f32_e32 v7, v7
	v_cvt_u32_f32_e32 v4, v4
	v_mul_lo_u32 v8, s0, v7
	v_mul_hi_u32 v9, s0, v4
	v_mul_lo_u32 v11, s1, v4
	v_mul_lo_u32 v10, s0, v4
	v_add_u32_e32 v8, v9, v8
	v_add_u32_e32 v8, v8, v11
	v_mul_hi_u32 v9, v4, v10
	v_mul_lo_u32 v11, v4, v8
	v_mul_hi_u32 v13, v4, v8
	v_mul_hi_u32 v12, v7, v10
	v_mul_lo_u32 v10, v7, v10
	v_mul_hi_u32 v14, v7, v8
	v_add_co_u32_e32 v9, vcc, v9, v11
	v_addc_co_u32_e32 v11, vcc, 0, v13, vcc
	v_mul_lo_u32 v8, v7, v8
	v_add_co_u32_e32 v9, vcc, v9, v10
	v_addc_co_u32_e32 v9, vcc, v11, v12, vcc
	v_addc_co_u32_e32 v10, vcc, 0, v14, vcc
	v_add_co_u32_e32 v8, vcc, v9, v8
	v_addc_co_u32_e32 v9, vcc, 0, v10, vcc
	v_add_co_u32_e32 v4, vcc, v4, v8
	v_addc_co_u32_e32 v7, vcc, v7, v9, vcc
	v_mul_lo_u32 v8, s0, v7
	v_mul_hi_u32 v9, s0, v4
	v_mul_lo_u32 v10, s1, v4
	v_mul_lo_u32 v11, s0, v4
	v_add_u32_e32 v8, v9, v8
	v_add_u32_e32 v8, v8, v10
	v_mul_lo_u32 v12, v4, v8
	v_mul_hi_u32 v13, v4, v11
	v_mul_hi_u32 v14, v4, v8
	;; [unrolled: 1-line block ×3, first 2 shown]
	v_mul_lo_u32 v11, v7, v11
	v_mul_hi_u32 v9, v7, v8
	v_add_co_u32_e32 v12, vcc, v13, v12
	v_addc_co_u32_e32 v13, vcc, 0, v14, vcc
	v_mul_lo_u32 v8, v7, v8
	v_add_co_u32_e32 v11, vcc, v12, v11
	v_addc_co_u32_e32 v10, vcc, v13, v10, vcc
	v_addc_co_u32_e32 v9, vcc, 0, v9, vcc
	v_add_co_u32_e32 v8, vcc, v10, v8
	v_addc_co_u32_e32 v9, vcc, 0, v9, vcc
	v_add_co_u32_e32 v4, vcc, v4, v8
	v_addc_co_u32_e32 v9, vcc, v7, v9, vcc
	v_mad_u64_u32 v[7:8], s[0:1], v5, v9, 0
	v_mul_hi_u32 v10, v5, v4
	v_add_co_u32_e32 v11, vcc, v10, v7
	v_addc_co_u32_e32 v12, vcc, 0, v8, vcc
	v_mad_u64_u32 v[7:8], s[0:1], v6, v4, 0
	v_mad_u64_u32 v[9:10], s[0:1], v6, v9, 0
	v_add_co_u32_e32 v4, vcc, v11, v7
	v_addc_co_u32_e32 v4, vcc, v12, v8, vcc
	v_addc_co_u32_e32 v7, vcc, 0, v10, vcc
	v_add_co_u32_e32 v4, vcc, v4, v9
	v_addc_co_u32_e32 v9, vcc, 0, v7, vcc
	v_mul_lo_u32 v10, s21, v4
	v_mul_lo_u32 v11, s20, v9
	v_mad_u64_u32 v[7:8], s[0:1], s20, v4, 0
	v_add3_u32 v8, v8, v11, v10
	v_sub_u32_e32 v10, v6, v8
	v_mov_b32_e32 v11, s21
	v_sub_co_u32_e32 v7, vcc, v5, v7
	v_subb_co_u32_e64 v10, s[0:1], v10, v11, vcc
	v_subrev_co_u32_e64 v11, s[0:1], s20, v7
	v_subbrev_co_u32_e64 v10, s[0:1], 0, v10, s[0:1]
	v_cmp_le_u32_e64 s[0:1], s21, v10
	v_cndmask_b32_e64 v12, 0, -1, s[0:1]
	v_cmp_le_u32_e64 s[0:1], s20, v11
	v_cndmask_b32_e64 v11, 0, -1, s[0:1]
	v_cmp_eq_u32_e64 s[0:1], s21, v10
	v_cndmask_b32_e64 v10, v12, v11, s[0:1]
	v_add_co_u32_e64 v11, s[0:1], 2, v4
	v_addc_co_u32_e64 v12, s[0:1], 0, v9, s[0:1]
	v_add_co_u32_e64 v13, s[0:1], 1, v4
	v_addc_co_u32_e64 v14, s[0:1], 0, v9, s[0:1]
	v_subb_co_u32_e32 v8, vcc, v6, v8, vcc
	v_cmp_ne_u32_e64 s[0:1], 0, v10
	v_cmp_le_u32_e32 vcc, s21, v8
	v_cndmask_b32_e64 v10, v14, v12, s[0:1]
	v_cndmask_b32_e64 v12, 0, -1, vcc
	v_cmp_le_u32_e32 vcc, s20, v7
	v_cndmask_b32_e64 v7, 0, -1, vcc
	v_cmp_eq_u32_e32 vcc, s21, v8
	v_cndmask_b32_e32 v7, v12, v7, vcc
	v_cmp_ne_u32_e32 vcc, 0, v7
	v_cndmask_b32_e64 v7, v13, v11, s[0:1]
	v_cndmask_b32_e32 v8, v9, v10, vcc
	v_cndmask_b32_e32 v7, v4, v7, vcc
.LBB0_4:                                ;   in Loop: Header=BB0_2 Depth=1
	s_andn2_saveexec_b64 s[0:1], s[22:23]
	s_cbranch_execz .LBB0_6
; %bb.5:                                ;   in Loop: Header=BB0_2 Depth=1
	v_cvt_f32_u32_e32 v4, s20
	s_sub_i32 s22, 0, s20
	v_rcp_iflag_f32_e32 v4, v4
	v_mul_f32_e32 v4, 0x4f7ffffe, v4
	v_cvt_u32_f32_e32 v4, v4
	v_mul_lo_u32 v7, s22, v4
	v_mul_hi_u32 v7, v4, v7
	v_add_u32_e32 v4, v4, v7
	v_mul_hi_u32 v4, v5, v4
	v_mul_lo_u32 v7, v4, s20
	v_add_u32_e32 v8, 1, v4
	v_sub_u32_e32 v7, v5, v7
	v_subrev_u32_e32 v9, s20, v7
	v_cmp_le_u32_e32 vcc, s20, v7
	v_cndmask_b32_e32 v7, v7, v9, vcc
	v_cndmask_b32_e32 v4, v4, v8, vcc
	v_add_u32_e32 v8, 1, v4
	v_cmp_le_u32_e32 vcc, s20, v7
	v_cndmask_b32_e32 v7, v4, v8, vcc
	v_mov_b32_e32 v8, v3
.LBB0_6:                                ;   in Loop: Header=BB0_2 Depth=1
	s_or_b64 exec, exec, s[0:1]
	v_mul_lo_u32 v4, v8, s20
	v_mul_lo_u32 v11, v7, s21
	v_mad_u64_u32 v[9:10], s[0:1], v7, s20, 0
	s_load_dwordx2 s[0:1], s[6:7], 0x0
	s_add_u32 s18, s18, 1
	v_add3_u32 v4, v10, v11, v4
	v_sub_co_u32_e32 v5, vcc, v5, v9
	v_subb_co_u32_e32 v4, vcc, v6, v4, vcc
	s_waitcnt lgkmcnt(0)
	v_mul_lo_u32 v4, s0, v4
	v_mul_lo_u32 v6, s1, v5
	v_mad_u64_u32 v[1:2], s[0:1], s0, v5, v[1:2]
	s_addc_u32 s19, s19, 0
	s_add_u32 s6, s6, 8
	v_add3_u32 v2, v6, v2, v4
	v_mov_b32_e32 v4, s10
	v_mov_b32_e32 v5, s11
	s_addc_u32 s7, s7, 0
	v_cmp_ge_u64_e32 vcc, s[18:19], v[4:5]
	s_add_u32 s16, s16, 8
	s_addc_u32 s17, s17, 0
	s_cbranch_vccnz .LBB0_9
; %bb.7:                                ;   in Loop: Header=BB0_2 Depth=1
	v_mov_b32_e32 v5, v7
	v_mov_b32_e32 v6, v8
	s_branch .LBB0_2
.LBB0_8:
	v_mov_b32_e32 v8, v6
	v_mov_b32_e32 v7, v5
.LBB0_9:
	s_lshl_b64 s[0:1], s[10:11], 3
	s_add_u32 s0, s14, s0
	s_addc_u32 s1, s15, s1
	s_load_dwordx2 s[6:7], s[0:1], 0x0
	s_load_dwordx2 s[10:11], s[4:5], 0x20
                                        ; implicit-def: $vgpr38
                                        ; implicit-def: $vgpr37
                                        ; implicit-def: $vgpr36
	s_waitcnt lgkmcnt(0)
	v_mad_u64_u32 v[1:2], s[0:1], s6, v7, v[1:2]
	s_mov_b32 s0, 0x1a41a42
	v_mul_lo_u32 v3, s6, v8
	v_mul_lo_u32 v4, s7, v7
	v_mul_hi_u32 v5, v0, s0
	v_cmp_gt_u64_e32 vcc, s[10:11], v[7:8]
	v_cmp_le_u64_e64 s[0:1], s[10:11], v[7:8]
	v_add3_u32 v2, v4, v2, v3
	v_mul_u32_u24_e32 v3, 0x9c, v5
	v_sub_u32_e32 v35, v0, v3
                                        ; implicit-def: $sgpr6_sgpr7
                                        ; implicit-def: $sgpr10
	s_and_saveexec_b64 s[4:5], s[0:1]
	s_xor_b64 s[0:1], exec, s[4:5]
; %bb.10:
	v_add_u32_e32 v38, 0x9c, v35
	v_add_u32_e32 v37, 0x138, v35
	;; [unrolled: 1-line block ×3, first 2 shown]
	s_mov_b32 s10, 0
	s_mov_b64 s[6:7], 0
; %bb.11:
	s_or_saveexec_b64 s[4:5], s[0:1]
	v_lshlrev_b64 v[16:17], 3, v[1:2]
	v_mov_b32_e32 v25, s7
	v_mov_b32_e32 v34, s10
	;; [unrolled: 1-line block ×3, first 2 shown]
                                        ; implicit-def: $vgpr27
                                        ; implicit-def: $vgpr21
                                        ; implicit-def: $vgpr15
                                        ; implicit-def: $vgpr11
                                        ; implicit-def: $vgpr7
                                        ; implicit-def: $vgpr3
                                        ; implicit-def: $vgpr9
                                        ; implicit-def: $vgpr13
                                        ; implicit-def: $vgpr19
                                        ; implicit-def: $vgpr29
                                        ; implicit-def: $vgpr23
                                        ; implicit-def: $vgpr5
	s_xor_b64 exec, exec, s[4:5]
	s_cbranch_execz .LBB0_13
; %bb.12:
	v_mad_u64_u32 v[0:1], s[0:1], s2, v35, 0
	v_add_u32_e32 v38, 0x9c, v35
	v_mov_b32_e32 v4, s13
	v_mad_u64_u32 v[1:2], s[0:1], s3, v35, v[1:2]
	v_mad_u64_u32 v[2:3], s[0:1], s2, v38, 0
	v_add_co_u32_e64 v10, s[0:1], s12, v16
	v_addc_co_u32_e64 v11, s[0:1], v4, v17, s[0:1]
	v_mad_u64_u32 v[3:4], s[0:1], s3, v38, v[3:4]
	v_add_u32_e32 v37, 0x138, v35
	v_mad_u64_u32 v[4:5], s[0:1], s2, v37, 0
	v_lshlrev_b64 v[0:1], 3, v[0:1]
	v_add_u32_e32 v36, 0x1d4, v35
	v_add_co_u32_e64 v0, s[0:1], v10, v0
	v_addc_co_u32_e64 v1, s[0:1], v11, v1, s[0:1]
	v_mad_u64_u32 v[5:6], s[0:1], s3, v37, v[5:6]
	v_mad_u64_u32 v[6:7], s[0:1], s2, v36, 0
	v_lshlrev_b64 v[2:3], 3, v[2:3]
	v_mov_b32_e32 v34, v35
	v_add_co_u32_e64 v30, s[0:1], v10, v2
	v_addc_co_u32_e64 v31, s[0:1], v11, v3, s[0:1]
	v_lshlrev_b64 v[2:3], 3, v[4:5]
	v_mov_b32_e32 v4, v7
	v_mad_u64_u32 v[4:5], s[0:1], s3, v36, v[4:5]
	v_add_u32_e32 v5, 0x270, v35
	v_mad_u64_u32 v[8:9], s[0:1], s2, v5, 0
	v_add_co_u32_e64 v32, s[0:1], v10, v2
	v_mov_b32_e32 v7, v4
	v_mov_b32_e32 v4, v9
	v_addc_co_u32_e64 v33, s[0:1], v11, v3, s[0:1]
	v_lshlrev_b64 v[2:3], 3, v[6:7]
	v_mad_u64_u32 v[4:5], s[0:1], s3, v5, v[4:5]
	v_add_u32_e32 v7, 0x30c, v35
	v_mad_u64_u32 v[5:6], s[0:1], s2, v7, 0
	v_add_co_u32_e64 v39, s[0:1], v10, v2
	v_mov_b32_e32 v9, v4
	v_mov_b32_e32 v4, v6
	v_addc_co_u32_e64 v40, s[0:1], v11, v3, s[0:1]
	v_lshlrev_b64 v[2:3], 3, v[8:9]
	v_mad_u64_u32 v[6:7], s[0:1], s3, v7, v[4:5]
	v_add_u32_e32 v9, 0x3a8, v35
	v_mad_u64_u32 v[7:8], s[0:1], s2, v9, 0
	v_add_co_u32_e64 v41, s[0:1], v10, v2
	v_mov_b32_e32 v4, v8
	v_addc_co_u32_e64 v42, s[0:1], v11, v3, s[0:1]
	v_lshlrev_b64 v[2:3], 3, v[5:6]
	v_mad_u64_u32 v[4:5], s[0:1], s3, v9, v[4:5]
	v_add_u32_e32 v9, 0x444, v35
	v_mad_u64_u32 v[5:6], s[0:1], s2, v9, 0
	v_add_co_u32_e64 v43, s[0:1], v10, v2
	v_mov_b32_e32 v8, v4
	v_mov_b32_e32 v4, v6
	v_addc_co_u32_e64 v44, s[0:1], v11, v3, s[0:1]
	v_lshlrev_b64 v[2:3], 3, v[7:8]
	v_mad_u64_u32 v[6:7], s[0:1], s3, v9, v[4:5]
	v_add_u32_e32 v9, 0x4e0, v35
	v_mad_u64_u32 v[7:8], s[0:1], s2, v9, 0
	v_add_co_u32_e64 v45, s[0:1], v10, v2
	;; [unrolled: 15-line block ×4, first 2 shown]
	v_mov_b32_e32 v4, v8
	v_addc_co_u32_e64 v54, s[0:1], v11, v3, s[0:1]
	v_lshlrev_b64 v[2:3], 3, v[5:6]
	v_mad_u64_u32 v[4:5], s[0:1], s3, v9, v[4:5]
	v_add_co_u32_e64 v55, s[0:1], v10, v2
	v_mov_b32_e32 v8, v4
	v_addc_co_u32_e64 v56, s[0:1], v11, v3, s[0:1]
	v_lshlrev_b64 v[2:3], 3, v[7:8]
	v_add_co_u32_e64 v57, s[0:1], v10, v2
	v_addc_co_u32_e64 v58, s[0:1], v11, v3, s[0:1]
	global_load_dwordx2 v[24:25], v[0:1], off
	global_load_dwordx2 v[26:27], v[30:31], off
	;; [unrolled: 1-line block ×13, first 2 shown]
.LBB0_13:
	s_or_b64 exec, exec, s[4:5]
	s_waitcnt vmcnt(11)
	v_add_f32_e32 v0, v26, v24
	v_add_f32_e32 v1, v27, v25
	s_waitcnt vmcnt(10)
	v_add_f32_e32 v0, v20, v0
	v_add_f32_e32 v1, v21, v1
	;; [unrolled: 3-line block ×7, first 2 shown]
	s_waitcnt vmcnt(4)
	v_add_f32_e32 v0, v8, v0
	s_waitcnt vmcnt(0)
	v_add_f32_e32 v30, v26, v28
	v_sub_f32_e32 v26, v26, v28
	v_add_f32_e32 v1, v9, v1
	v_add_f32_e32 v0, v12, v0
	v_mul_f32_e32 v32, 0xbeedf032, v26
	v_mul_f32_e32 v41, 0xbf52af12, v26
	;; [unrolled: 1-line block ×6, first 2 shown]
	v_add_f32_e32 v1, v13, v1
	v_add_f32_e32 v0, v18, v0
	;; [unrolled: 1-line block ×3, first 2 shown]
	s_mov_b32 s6, 0x3f62ad3f
	v_mov_b32_e32 v33, v32
	s_mov_b32 s4, 0x3f116cb1
	v_mov_b32_e32 v42, v41
	;; [unrolled: 2-line block ×6, first 2 shown]
	v_add_f32_e32 v1, v19, v1
	v_add_f32_e32 v0, v22, v0
	v_fmac_f32_e32 v33, 0x3f62ad3f, v31
	v_fma_f32 v32, v31, s6, -v32
	v_fmac_f32_e32 v42, 0x3f116cb1, v31
	v_fma_f32 v41, v31, s4, -v41
	;; [unrolled: 2-line block ×6, first 2 shown]
	v_add_f32_e32 v1, v23, v1
	v_add_f32_e32 v0, v28, v0
	v_mul_f32_e32 v28, 0x3f62ad3f, v30
	v_add_f32_e32 v33, v33, v25
	v_add_f32_e32 v32, v32, v25
	v_mul_f32_e32 v39, 0x3f116cb1, v30
	;; [unrolled: 3-line block ×6, first 2 shown]
	v_add_f32_e32 v56, v56, v25
	v_add_f32_e32 v25, v26, v25
	;; [unrolled: 1-line block ×4, first 2 shown]
	v_sub_f32_e32 v27, v27, v29
	v_mov_b32_e32 v29, v28
	v_mov_b32_e32 v40, v39
	;; [unrolled: 1-line block ×6, first 2 shown]
	v_sub_f32_e32 v20, v20, v22
	v_mul_f32_e32 v22, 0x3f116cb1, v26
	v_fmac_f32_e32 v29, 0x3eedf032, v27
	v_fmac_f32_e32 v28, 0xbeedf032, v27
	;; [unrolled: 1-line block ×12, first 2 shown]
	v_add_f32_e32 v27, v21, v23
	v_sub_f32_e32 v21, v21, v23
	v_mov_b32_e32 v23, v22
	v_add_f32_e32 v29, v29, v24
	v_fmac_f32_e32 v23, 0x3f52af12, v21
	v_add_f32_e32 v28, v28, v24
	v_add_f32_e32 v23, v23, v29
	v_mul_f32_e32 v29, 0xbf52af12, v20
	v_fmac_f32_e32 v22, 0xbf52af12, v21
	v_add_f32_e32 v40, v40, v24
	v_add_f32_e32 v39, v39, v24
	;; [unrolled: 1-line block ×10, first 2 shown]
	v_mov_b32_e32 v30, v29
	v_add_f32_e32 v22, v22, v28
	v_fma_f32 v28, v27, s4, -v29
	v_mul_f32_e32 v29, 0xbeb58ec6, v26
	v_mov_b32_e32 v31, v29
	v_fmac_f32_e32 v29, 0xbf6f5d39, v21
	v_fmac_f32_e32 v31, 0x3f6f5d39, v21
	v_add_f32_e32 v29, v29, v39
	v_mul_f32_e32 v39, 0xbf788fa5, v26
	v_fmac_f32_e32 v30, 0x3f116cb1, v27
	v_add_f32_e32 v28, v28, v32
	v_add_f32_e32 v31, v31, v40
	v_mul_f32_e32 v32, 0xbf6f5d39, v20
	v_mov_b32_e32 v40, v39
	v_fmac_f32_e32 v39, 0xbe750f2a, v21
	v_add_f32_e32 v30, v30, v33
	v_mov_b32_e32 v33, v32
	v_fma_f32 v32, v27, s1, -v32
	v_fmac_f32_e32 v40, 0x3e750f2a, v21
	v_add_f32_e32 v39, v39, v43
	v_mul_f32_e32 v43, 0xbf3f9e67, v26
	v_fmac_f32_e32 v33, 0xbeb58ec6, v27
	v_add_f32_e32 v32, v32, v41
	v_add_f32_e32 v40, v40, v44
	v_mul_f32_e32 v41, 0xbe750f2a, v20
	v_mov_b32_e32 v44, v43
	v_fmac_f32_e32 v43, 0x3f29c268, v21
	v_add_f32_e32 v33, v33, v42
	v_mov_b32_e32 v42, v41
	v_fma_f32 v41, v27, s7, -v41
	v_fmac_f32_e32 v44, 0xbf29c268, v21
	v_add_f32_e32 v43, v43, v47
	v_mul_f32_e32 v47, 0x3df6dbef, v26
	v_fmac_f32_e32 v42, 0xbf788fa5, v27
	v_add_f32_e32 v41, v41, v45
	v_add_f32_e32 v44, v44, v48
	v_mul_f32_e32 v45, 0x3f29c268, v20
	v_mov_b32_e32 v48, v47
	v_fmac_f32_e32 v47, 0x3f7e222b, v21
	v_mul_f32_e32 v26, 0x3f62ad3f, v26
	v_add_f32_e32 v42, v42, v46
	v_mov_b32_e32 v46, v45
	v_fma_f32 v45, v27, s5, -v45
	v_add_f32_e32 v47, v47, v51
	v_mov_b32_e32 v51, v26
	v_fmac_f32_e32 v26, 0x3eedf032, v21
	v_add_f32_e32 v45, v45, v49
	v_fmac_f32_e32 v48, 0xbf7e222b, v21
	v_mul_f32_e32 v49, 0x3f7e222b, v20
	v_fmac_f32_e32 v51, 0xbeedf032, v21
	v_mul_f32_e32 v20, 0x3eedf032, v20
	v_add_f32_e32 v21, v26, v24
	v_add_f32_e32 v24, v14, v18
	;; [unrolled: 1-line block ×3, first 2 shown]
	v_mov_b32_e32 v52, v20
	v_fma_f32 v20, v27, s6, -v20
	v_sub_f32_e32 v14, v14, v18
	v_mul_f32_e32 v18, 0x3df6dbef, v24
	v_add_f32_e32 v20, v20, v25
	v_add_f32_e32 v25, v15, v19
	v_sub_f32_e32 v15, v15, v19
	v_mov_b32_e32 v19, v18
	v_fmac_f32_e32 v19, 0x3f7e222b, v15
	v_fmac_f32_e32 v46, 0xbf3f9e67, v27
	v_add_f32_e32 v19, v19, v23
	v_mul_f32_e32 v23, 0xbf7e222b, v14
	v_fmac_f32_e32 v18, 0xbf7e222b, v15
	v_add_f32_e32 v46, v46, v50
	v_mov_b32_e32 v50, v49
	v_mov_b32_e32 v26, v23
	v_add_f32_e32 v18, v18, v22
	v_fma_f32 v22, v25, s0, -v23
	v_mul_f32_e32 v23, 0xbf788fa5, v24
	v_fmac_f32_e32 v50, 0x3df6dbef, v27
	v_fma_f32 v49, v27, s0, -v49
	v_fmac_f32_e32 v52, 0x3f62ad3f, v27
	v_mov_b32_e32 v27, v23
	v_fmac_f32_e32 v23, 0xbe750f2a, v15
	v_fmac_f32_e32 v26, 0x3df6dbef, v25
	v_add_f32_e32 v22, v22, v28
	v_fmac_f32_e32 v27, 0x3e750f2a, v15
	v_mul_f32_e32 v28, 0xbe750f2a, v14
	v_add_f32_e32 v23, v23, v29
	v_mul_f32_e32 v29, 0xbeb58ec6, v24
	v_add_f32_e32 v26, v26, v30
	v_add_f32_e32 v27, v27, v31
	v_mov_b32_e32 v30, v28
	v_fma_f32 v28, v25, s7, -v28
	v_mov_b32_e32 v31, v29
	v_fmac_f32_e32 v29, 0x3f6f5d39, v15
	v_fmac_f32_e32 v30, 0xbf788fa5, v25
	v_add_f32_e32 v28, v28, v32
	v_fmac_f32_e32 v31, 0xbf6f5d39, v15
	v_mul_f32_e32 v32, 0x3f6f5d39, v14
	v_add_f32_e32 v29, v29, v39
	v_mul_f32_e32 v39, 0x3f62ad3f, v24
	v_add_f32_e32 v30, v30, v33
	v_add_f32_e32 v31, v31, v40
	v_mov_b32_e32 v33, v32
	v_fma_f32 v32, v25, s1, -v32
	v_mov_b32_e32 v40, v39
	v_fmac_f32_e32 v39, 0x3eedf032, v15
	v_fmac_f32_e32 v33, 0xbeb58ec6, v25
	v_add_f32_e32 v32, v32, v41
	v_fmac_f32_e32 v40, 0xbeedf032, v15
	v_mul_f32_e32 v41, 0x3eedf032, v14
	v_add_f32_e32 v39, v39, v43
	v_mul_f32_e32 v43, 0x3f116cb1, v24
	v_add_f32_e32 v33, v33, v42
	v_add_f32_e32 v40, v40, v44
	v_mov_b32_e32 v42, v41
	v_fma_f32 v41, v25, s6, -v41
	v_mov_b32_e32 v44, v43
	v_add_f32_e32 v41, v41, v45
	v_fmac_f32_e32 v44, 0x3f52af12, v15
	v_mul_f32_e32 v45, 0xbf52af12, v14
	v_mul_f32_e32 v14, 0xbf29c268, v14
	v_add_f32_e32 v44, v44, v48
	v_mov_b32_e32 v48, v14
	v_fma_f32 v14, v25, s5, -v14
	v_fmac_f32_e32 v43, 0xbf52af12, v15
	v_mul_f32_e32 v24, 0xbf3f9e67, v24
	v_add_f32_e32 v14, v14, v20
	v_add_f32_e32 v20, v10, v12
	;; [unrolled: 1-line block ×3, first 2 shown]
	v_mov_b32_e32 v47, v24
	v_fmac_f32_e32 v24, 0xbf29c268, v15
	v_sub_f32_e32 v10, v10, v12
	v_mul_f32_e32 v12, 0xbeb58ec6, v20
	v_fmac_f32_e32 v47, 0x3f29c268, v15
	v_add_f32_e32 v15, v24, v21
	v_add_f32_e32 v21, v11, v13
	v_sub_f32_e32 v11, v11, v13
	v_mov_b32_e32 v13, v12
	v_fmac_f32_e32 v13, 0x3f6f5d39, v11
	v_fmac_f32_e32 v42, 0x3f62ad3f, v25
	v_add_f32_e32 v13, v13, v19
	v_mul_f32_e32 v19, 0xbf6f5d39, v10
	v_fmac_f32_e32 v12, 0xbf6f5d39, v11
	v_add_f32_e32 v42, v42, v46
	v_mov_b32_e32 v46, v45
	v_mov_b32_e32 v24, v19
	v_add_f32_e32 v12, v12, v18
	v_fma_f32 v18, v21, s1, -v19
	v_mul_f32_e32 v19, 0xbf3f9e67, v20
	v_fmac_f32_e32 v46, 0x3f116cb1, v25
	v_fma_f32 v45, v25, s4, -v45
	v_fmac_f32_e32 v48, 0xbf3f9e67, v25
	v_fmac_f32_e32 v24, 0xbeb58ec6, v21
	v_add_f32_e32 v18, v18, v22
	v_mov_b32_e32 v22, v19
	v_mul_f32_e32 v25, 0x3f29c268, v10
	v_fmac_f32_e32 v19, 0x3f29c268, v11
	v_add_f32_e32 v24, v24, v26
	v_fmac_f32_e32 v22, 0xbf29c268, v11
	v_mov_b32_e32 v26, v25
	v_add_f32_e32 v19, v19, v23
	v_fma_f32 v23, v21, s5, -v25
	v_mul_f32_e32 v25, 0x3f62ad3f, v20
	v_add_f32_e32 v22, v22, v27
	v_mov_b32_e32 v27, v25
	v_fmac_f32_e32 v25, 0x3eedf032, v11
	v_fmac_f32_e32 v26, 0xbf3f9e67, v21
	v_add_f32_e32 v23, v23, v28
	v_fmac_f32_e32 v27, 0xbeedf032, v11
	v_mul_f32_e32 v28, 0x3eedf032, v10
	v_add_f32_e32 v25, v25, v29
	v_mul_f32_e32 v29, 0x3df6dbef, v20
	v_add_f32_e32 v26, v26, v30
	v_add_f32_e32 v27, v27, v31
	v_mov_b32_e32 v30, v28
	v_fma_f32 v28, v21, s6, -v28
	v_mov_b32_e32 v31, v29
	v_fmac_f32_e32 v29, 0xbf7e222b, v11
	v_fmac_f32_e32 v30, 0x3f62ad3f, v21
	v_add_f32_e32 v28, v28, v32
	v_fmac_f32_e32 v31, 0x3f7e222b, v11
	v_mul_f32_e32 v32, 0xbf7e222b, v10
	v_add_f32_e32 v29, v29, v39
	v_mul_f32_e32 v39, 0xbf788fa5, v20
	v_add_f32_e32 v30, v30, v33
	v_add_f32_e32 v31, v31, v40
	v_mov_b32_e32 v33, v32
	v_fma_f32 v32, v21, s0, -v32
	v_mov_b32_e32 v40, v39
	v_add_f32_e32 v32, v32, v41
	v_fmac_f32_e32 v40, 0xbe750f2a, v11
	v_mul_f32_e32 v41, 0x3e750f2a, v10
	v_mul_f32_e32 v10, 0x3f52af12, v10
	v_add_f32_e32 v40, v40, v44
	v_mov_b32_e32 v44, v10
	v_fma_f32 v10, v21, s4, -v10
	v_fmac_f32_e32 v39, 0x3e750f2a, v11
	v_mul_f32_e32 v20, 0x3f116cb1, v20
	v_add_f32_e32 v14, v10, v14
	v_add_f32_e32 v10, v6, v8
	;; [unrolled: 1-line block ×3, first 2 shown]
	v_mov_b32_e32 v43, v20
	v_fmac_f32_e32 v20, 0x3f52af12, v11
	v_sub_f32_e32 v6, v6, v8
	v_mul_f32_e32 v8, 0xbf3f9e67, v10
	v_add_f32_e32 v15, v20, v15
	v_add_f32_e32 v20, v7, v9
	v_sub_f32_e32 v7, v7, v9
	v_mov_b32_e32 v9, v8
	v_fmac_f32_e32 v9, 0x3f29c268, v7
	v_add_f32_e32 v13, v9, v13
	v_mul_f32_e32 v9, 0xbf29c268, v6
	v_fmac_f32_e32 v33, 0x3df6dbef, v21
	v_fmac_f32_e32 v43, 0xbf52af12, v11
	v_mov_b32_e32 v11, v9
	v_fmac_f32_e32 v8, 0xbf29c268, v7
	v_add_f32_e32 v33, v33, v42
	v_mov_b32_e32 v42, v41
	v_fmac_f32_e32 v11, 0xbf3f9e67, v20
	v_add_f32_e32 v12, v8, v12
	v_fma_f32 v8, v20, s5, -v9
	v_fmac_f32_e32 v42, 0xbf788fa5, v21
	v_fma_f32 v41, v21, s7, -v41
	v_fmac_f32_e32 v44, 0x3f116cb1, v21
	v_add_f32_e32 v21, v11, v24
	v_add_f32_e32 v24, v8, v18
	v_mul_f32_e32 v8, 0x3df6dbef, v10
	v_mov_b32_e32 v9, v8
	v_add_f32_e32 v49, v49, v53
	v_fmac_f32_e32 v9, 0xbf7e222b, v7
	v_add_f32_e32 v45, v45, v49
	v_add_f32_e32 v22, v9, v22
	v_mul_f32_e32 v9, 0x3f7e222b, v6
	v_fmac_f32_e32 v8, 0x3f7e222b, v7
	v_add_f32_e32 v41, v41, v45
	v_add_f32_e32 v45, v8, v19
	v_fma_f32 v8, v20, s0, -v9
	v_add_f32_e32 v23, v8, v23
	v_mul_f32_e32 v8, 0x3f116cb1, v10
	v_mov_b32_e32 v11, v9
	v_mov_b32_e32 v9, v8
	v_fmac_f32_e32 v9, 0x3f52af12, v7
	v_add_f32_e32 v27, v9, v27
	v_mul_f32_e32 v9, 0xbf52af12, v6
	v_fmac_f32_e32 v8, 0xbf52af12, v7
	v_add_f32_e32 v25, v8, v25
	v_fma_f32 v8, v20, s4, -v9
	v_fmac_f32_e32 v11, 0x3df6dbef, v20
	v_add_f32_e32 v28, v8, v28
	v_mul_f32_e32 v8, 0xbf788fa5, v10
	v_add_f32_e32 v26, v11, v26
	v_mov_b32_e32 v11, v9
	v_mov_b32_e32 v9, v8
	v_fmac_f32_e32 v9, 0xbe750f2a, v7
	v_add_f32_e32 v31, v9, v31
	v_mul_f32_e32 v9, 0x3e750f2a, v6
	v_fmac_f32_e32 v8, 0x3e750f2a, v7
	v_add_f32_e32 v29, v8, v29
	v_fma_f32 v8, v20, s7, -v9
	v_fmac_f32_e32 v11, 0x3f116cb1, v20
	v_add_f32_e32 v32, v8, v32
	v_mul_f32_e32 v8, 0x3f62ad3f, v10
	v_add_f32_e32 v30, v11, v30
	v_mov_b32_e32 v11, v9
	v_mov_b32_e32 v9, v8
	v_add_f32_e32 v51, v51, v55
	v_fmac_f32_e32 v9, 0xbeedf032, v7
	v_mul_f32_e32 v18, 0xbeb58ec6, v10
	v_add_f32_e32 v50, v50, v54
	v_add_f32_e32 v52, v52, v56
	;; [unrolled: 1-line block ×3, first 2 shown]
	v_fmac_f32_e32 v11, 0xbf788fa5, v20
	v_add_f32_e32 v40, v9, v40
	v_mul_f32_e32 v9, 0x3eedf032, v6
	v_mov_b32_e32 v10, v18
	v_mul_f32_e32 v19, 0xbf6f5d39, v6
	v_add_f32_e32 v46, v46, v50
	v_add_f32_e32 v48, v48, v52
	;; [unrolled: 1-line block ×4, first 2 shown]
	v_mov_b32_e32 v11, v9
	v_fmac_f32_e32 v8, 0x3eedf032, v7
	v_fmac_f32_e32 v10, 0x3f6f5d39, v7
	v_mov_b32_e32 v6, v19
	v_add_f32_e32 v42, v42, v46
	v_add_f32_e32 v44, v44, v48
	v_fmac_f32_e32 v11, 0x3f62ad3f, v20
	v_add_f32_e32 v8, v8, v39
	v_fma_f32 v9, v20, s6, -v9
	v_add_f32_e32 v10, v10, v43
	v_fmac_f32_e32 v6, 0xbeb58ec6, v20
	v_add_f32_e32 v39, v2, v4
	v_sub_f32_e32 v43, v2, v4
	v_add_f32_e32 v42, v11, v42
	v_add_f32_e32 v9, v9, v41
	;; [unrolled: 1-line block ×4, first 2 shown]
	v_sub_f32_e32 v44, v3, v5
	v_mul_f32_e32 v4, 0xbf788fa5, v39
	v_mul_f32_e32 v5, 0xbe750f2a, v43
	v_fmac_f32_e32 v18, 0xbf6f5d39, v7
	v_mov_b32_e32 v2, v4
	v_mov_b32_e32 v3, v5
	v_fmac_f32_e32 v4, 0xbe750f2a, v44
	v_add_f32_e32 v6, v18, v15
	v_fmac_f32_e32 v2, 0x3e750f2a, v44
	v_fmac_f32_e32 v3, 0xbf788fa5, v41
	v_add_f32_e32 v18, v4, v12
	v_fma_f32 v4, v41, s7, -v5
	v_mul_f32_e32 v12, 0x3f62ad3f, v39
	v_fma_f32 v7, v20, s1, -v19
	v_add_f32_e32 v2, v2, v13
	v_add_f32_e32 v3, v3, v21
	;; [unrolled: 1-line block ×3, first 2 shown]
	v_mov_b32_e32 v4, v12
	v_mul_f32_e32 v13, 0x3eedf032, v43
	v_mul_f32_e32 v21, 0xbf29c268, v43
	v_fmac_f32_e32 v4, 0xbeedf032, v44
	v_mov_b32_e32 v5, v13
	v_mov_b32_e32 v15, v21
	v_fma_f32 v21, v41, s5, -v21
	v_mul_f32_e32 v24, 0x3f116cb1, v39
	v_add_f32_e32 v4, v4, v22
	v_fmac_f32_e32 v5, 0x3f62ad3f, v41
	v_add_f32_e32 v21, v21, v28
	v_mov_b32_e32 v22, v24
	v_fmac_f32_e32 v24, 0x3f52af12, v44
	v_mul_f32_e32 v28, 0xbeb58ec6, v39
	v_add_f32_e32 v5, v5, v26
	v_mul_f32_e32 v20, 0xbf3f9e67, v39
	v_add_f32_e32 v24, v24, v29
	v_mov_b32_e32 v26, v28
	v_mul_f32_e32 v29, 0xbf6f5d39, v43
	v_fmac_f32_e32 v28, 0xbf6f5d39, v44
	v_add_f32_e32 v7, v7, v14
	v_mov_b32_e32 v14, v20
	v_add_f32_e32 v8, v28, v8
	v_fma_f32 v28, v41, s1, -v29
	v_fmac_f32_e32 v14, 0x3f29c268, v44
	v_add_f32_e32 v9, v28, v9
	v_mul_f32_e32 v28, 0x3df6dbef, v39
	v_add_f32_e32 v14, v14, v27
	v_mov_b32_e32 v27, v29
	v_mov_b32_e32 v29, v28
	v_fmac_f32_e32 v20, 0xbf29c268, v44
	v_fmac_f32_e32 v29, 0xbf7e222b, v44
	v_fma_f32 v13, v41, s6, -v13
	v_fmac_f32_e32 v15, 0xbf3f9e67, v41
	v_add_f32_e32 v20, v20, v25
	v_mul_f32_e32 v25, 0x3f52af12, v43
	v_add_f32_e32 v10, v29, v10
	v_mul_f32_e32 v29, 0x3f7e222b, v43
	v_fmac_f32_e32 v28, 0x3f7e222b, v44
	v_add_f32_e32 v13, v13, v23
	v_add_f32_e32 v15, v15, v30
	v_mov_b32_e32 v23, v25
	v_mov_b32_e32 v30, v29
	v_add_f32_e32 v6, v28, v6
	v_fma_f32 v28, v41, s0, -v29
	s_movk_i32 s0, 0x68
	v_fmac_f32_e32 v12, 0x3eedf032, v44
	v_fmac_f32_e32 v22, 0xbf52af12, v44
	;; [unrolled: 1-line block ×3, first 2 shown]
	v_fma_f32 v25, v41, s4, -v25
	v_fmac_f32_e32 v26, 0x3f6f5d39, v44
	v_fmac_f32_e32 v27, 0xbeb58ec6, v41
	;; [unrolled: 1-line block ×3, first 2 shown]
	v_add_f32_e32 v7, v28, v7
	v_mad_u32_u24 v28, v35, s0, 0
	s_movk_i32 s0, 0xffa0
	v_add_f32_e32 v12, v12, v45
	v_add_f32_e32 v22, v22, v31
	;; [unrolled: 1-line block ×7, first 2 shown]
	ds_write2_b64 v28, v[0:1], v[2:3] offset1:1
	ds_write2_b64 v28, v[4:5], v[14:15] offset0:2 offset1:3
	ds_write2_b64 v28, v[22:23], v[26:27] offset0:4 offset1:5
	;; [unrolled: 1-line block ×5, first 2 shown]
	ds_write_b64 v28, v[18:19] offset:96
	v_mad_i32_i24 v20, v35, s0, v28
	v_add_u32_e32 v0, 0xe00, v20
	s_waitcnt lgkmcnt(0)
	s_barrier
	ds_read2_b64 v[4:7], v0 offset0:59 offset1:215
	v_add_u32_e32 v0, 0x1800, v20
	v_add_u32_e32 v8, 0x2e00, v20
	v_lshl_add_u32 v41, v38, 3, 0
	v_add_u32_e32 v12, 0x2400, v20
	ds_read2_b64 v[0:3], v0 offset0:51 offset1:246
	ds_read2_b64 v[8:11], v8 offset0:49 offset1:205
	ds_read_b64 v[22:23], v41
	ds_read2_b64 v[12:15], v12 offset0:18 offset1:174
	v_lshl_add_u32 v42, v37, 3, 0
	ds_read_b64 v[26:27], v20 offset:14664
	ds_read_b64 v[24:25], v20
	ds_read_b64 v[20:21], v42
	v_mul_i32_i24_e32 v29, 0xffffffa0, v35
	v_cmp_gt_u32_e64 s[0:1], 39, v35
	v_add_u32_e32 v39, v28, v29
	v_lshl_add_u32 v40, v36, 3, 0
                                        ; implicit-def: $vgpr29
                                        ; implicit-def: $vgpr33
                                        ; implicit-def: $vgpr31
	s_and_saveexec_b64 s[4:5], s[0:1]
	s_cbranch_execz .LBB0_15
; %bb.14:
	ds_read_b64 v[28:29], v39 offset:7800
	ds_read_b64 v[32:33], v39 offset:11856
	ds_read_b64 v[18:19], v40
	ds_read_b64 v[30:31], v39 offset:15912
.LBB0_15:
	s_or_b64 exec, exec, s[4:5]
	s_movk_i32 s4, 0x4f
	v_mul_lo_u16_sdwa v43, v35, s4 dst_sel:DWORD dst_unused:UNUSED_PAD src0_sel:BYTE_0 src1_sel:DWORD
	v_lshrrev_b16_e32 v69, 10, v43
	v_mul_lo_u16_e32 v43, 13, v69
	v_sub_u16_e32 v70, v35, v43
	v_mov_b32_e32 v71, 3
	v_mul_u32_u24_sdwa v43, v70, v71 dst_sel:DWORD dst_unused:UNUSED_PAD src0_sel:BYTE_0 src1_sel:DWORD
	v_lshlrev_b32_e32 v43, 3, v43
	s_movk_i32 s4, 0x4ec5
	global_load_dwordx2 v[61:62], v43, s[8:9] offset:16
	global_load_dwordx4 v[45:48], v43, s[8:9]
	v_mul_u32_u24_sdwa v43, v38, s4 dst_sel:DWORD dst_unused:UNUSED_PAD src0_sel:WORD_0 src1_sel:DWORD
	v_lshrrev_b32_e32 v72, 18, v43
	v_mul_lo_u16_e32 v43, 13, v72
	v_sub_u16_e32 v73, v38, v43
	v_mul_u32_u24_e32 v43, 3, v73
	v_lshlrev_b32_e32 v43, 3, v43
	global_load_dwordx2 v[63:64], v43, s[8:9] offset:16
	global_load_dwordx4 v[49:52], v43, s[8:9]
	v_mul_u32_u24_sdwa v43, v37, s4 dst_sel:DWORD dst_unused:UNUSED_PAD src0_sel:WORD_0 src1_sel:DWORD
	v_lshrrev_b32_e32 v74, 18, v43
	v_mul_lo_u16_e32 v43, 13, v74
	v_sub_u16_e32 v75, v37, v43
	v_mul_u32_u24_e32 v43, 3, v75
	v_lshlrev_b32_e32 v43, 3, v43
	;; [unrolled: 8-line block ×3, first 2 shown]
	global_load_dwordx4 v[57:60], v76, s[8:9]
	global_load_dwordx2 v[67:68], v76, s[8:9] offset:16
	s_waitcnt vmcnt(0) lgkmcnt(0)
	s_barrier
	v_mul_f32_e32 v78, v62, v9
	v_mul_f32_e32 v77, v48, v3
	;; [unrolled: 1-line block ×4, first 2 shown]
	v_fma_f32 v2, v47, v2, -v77
	v_fmac_f32_e32 v48, v47, v3
	v_mul_f32_e32 v76, v46, v5
	v_mul_f32_e32 v46, v46, v4
	v_mul_f32_e32 v80, v52, v13
	v_mul_f32_e32 v52, v52, v12
	v_mul_f32_e32 v81, v64, v11
	v_mul_f32_e32 v64, v64, v10
	v_fma_f32 v3, v61, v8, -v78
	v_fmac_f32_e32 v62, v61, v9
	v_mul_f32_e32 v84, v27, v66
	v_mul_f32_e32 v82, v54, v1
	;; [unrolled: 1-line block ×4, first 2 shown]
	v_fma_f32 v12, v51, v12, -v80
	v_fmac_f32_e32 v52, v51, v13
	v_sub_f32_e32 v8, v24, v2
	v_sub_f32_e32 v9, v25, v48
	v_mul_f32_e32 v79, v50, v7
	v_mul_f32_e32 v54, v54, v0
	v_mul_f32_e32 v66, v26, v66
	v_fmac_f32_e32 v46, v45, v5
	v_fmac_f32_e32 v64, v63, v11
	v_fma_f32 v0, v53, v0, -v82
	v_fmac_f32_e32 v56, v55, v15
	v_fma_f32 v26, v26, v65, -v84
	v_fma_f32 v5, v24, 2.0, -v8
	v_fma_f32 v11, v25, 2.0, -v9
	v_sub_f32_e32 v24, v22, v12
	v_sub_f32_e32 v25, v23, v52
	v_mul_f32_e32 v50, v50, v6
	v_mul_f32_e32 v85, v29, v58
	;; [unrolled: 1-line block ×7, first 2 shown]
	v_fma_f32 v4, v45, v4, -v76
	v_fma_f32 v45, v49, v6, -v79
	;; [unrolled: 1-line block ×3, first 2 shown]
	v_fmac_f32_e32 v54, v53, v1
	v_fma_f32 v1, v55, v14, -v83
	v_fmac_f32_e32 v66, v27, v65
	v_fma_f32 v12, v22, 2.0, -v24
	v_fma_f32 v13, v23, 2.0, -v25
	v_sub_f32_e32 v22, v21, v56
	v_sub_f32_e32 v23, v0, v26
	v_fmac_f32_e32 v50, v49, v7
	v_fma_f32 v47, v28, v57, -v85
	v_fmac_f32_e32 v58, v29, v57
	v_fma_f32 v49, v32, v59, -v86
	;; [unrolled: 2-line block ×3, first 2 shown]
	v_fmac_f32_e32 v68, v31, v67
	v_sub_f32_e32 v6, v46, v62
	v_sub_f32_e32 v15, v45, v10
	v_sub_f32_e32 v1, v20, v1
	v_sub_f32_e32 v30, v54, v66
	v_add_f32_e32 v31, v22, v23
	v_sub_f32_e32 v7, v4, v3
	v_fma_f32 v3, v46, 2.0, -v6
	v_fma_f32 v10, v45, 2.0, -v15
	;; [unrolled: 1-line block ×6, first 2 shown]
	v_sub_f32_e32 v30, v1, v30
	v_fma_f32 v33, v22, 2.0, -v31
	v_sub_f32_e32 v22, v18, v49
	v_sub_f32_e32 v23, v19, v60
	;; [unrolled: 1-line block ×6, first 2 shown]
	v_fma_f32 v32, v1, 2.0, -v30
	v_fma_f32 v0, v18, 2.0, -v22
	;; [unrolled: 1-line block ×8, first 2 shown]
	v_sub_f32_e32 v20, v0, v18
	v_sub_f32_e32 v21, v1, v19
	;; [unrolled: 1-line block ×5, first 2 shown]
	v_add_f32_e32 v7, v9, v7
	v_sub_f32_e32 v14, v50, v64
	v_fma_f32 v18, v0, 2.0, -v20
	v_fma_f32 v19, v1, 2.0, -v21
	v_sub_f32_e32 v0, v22, v46
	v_add_f32_e32 v1, v23, v45
	v_mul_u32_u24_e32 v45, 0x1a0, v69
	v_lshlrev_b32_sdwa v46, v71, v70 dst_sel:DWORD dst_unused:UNUSED_PAD src0_sel:DWORD src1_sel:BYTE_0
	v_fma_f32 v4, v5, 2.0, -v2
	v_fma_f32 v5, v11, 2.0, -v3
	;; [unrolled: 1-line block ×5, first 2 shown]
	v_add3_u32 v45, 0, v45, v46
	v_sub_f32_e32 v10, v12, v10
	v_sub_f32_e32 v11, v13, v11
	;; [unrolled: 1-line block ×3, first 2 shown]
	v_add_f32_e32 v15, v25, v15
	ds_write2_b64 v45, v[4:5], v[8:9] offset1:13
	ds_write2_b64 v45, v[2:3], v[6:7] offset0:26 offset1:39
	v_mul_u32_u24_e32 v2, 0x1a0, v72
	v_lshlrev_b32_e32 v3, 3, v73
	v_fma_f32 v12, v12, 2.0, -v10
	v_fma_f32 v13, v13, 2.0, -v11
	;; [unrolled: 1-line block ×4, first 2 shown]
	v_add3_u32 v2, 0, v2, v3
	ds_write2_b64 v2, v[12:13], v[24:25] offset1:13
	ds_write2_b64 v2, v[10:11], v[14:15] offset0:26 offset1:39
	v_mul_u32_u24_e32 v2, 0x1a0, v74
	v_lshlrev_b32_e32 v3, 3, v75
	v_fma_f32 v22, v22, 2.0, -v0
	v_fma_f32 v23, v23, 2.0, -v1
	v_add3_u32 v2, 0, v2, v3
	ds_write2_b64 v2, v[28:29], v[32:33] offset1:13
	ds_write2_b64 v2, v[26:27], v[30:31] offset0:26 offset1:39
	s_and_saveexec_b64 s[4:5], s[0:1]
	s_cbranch_execz .LBB0_17
; %bb.16:
	v_mul_lo_u16_e32 v2, 52, v43
	v_lshlrev_b32_e32 v3, 3, v44
	v_lshlrev_b32_e32 v2, 3, v2
	v_add3_u32 v2, 0, v3, v2
	ds_write2_b64 v2, v[18:19], v[22:23] offset1:13
	ds_write2_b64 v2, v[20:21], v[0:1] offset0:26 offset1:39
.LBB0_17:
	s_or_b64 exec, exec, s[4:5]
	v_add_u32_e32 v0, 0x1400, v39
	v_add_u32_e32 v4, 0x2800, v39
	s_waitcnt lgkmcnt(0)
	s_barrier
	ds_read2_b64 v[0:3], v0 offset0:36 offset1:192
	ds_read2_b64 v[4:7], v4 offset0:72 offset1:228
	ds_read_b64 v[26:27], v41
	ds_read_b64 v[24:25], v40
	;; [unrolled: 1-line block ×4, first 2 shown]
	v_add_u32_e32 v8, 0x1c00, v39
	ds_read2_b64 v[12:15], v8 offset0:92 offset1:248
	v_add_u32_e32 v8, 0x3400, v39
	ds_read2_b64 v[8:11], v8 offset1:156
	v_cmp_gt_u32_e64 s[0:1], 52, v35
	v_lshl_add_u32 v32, v35, 3, 0
	s_and_saveexec_b64 s[4:5], s[0:1]
	s_cbranch_execz .LBB0_19
; %bb.18:
	ds_read_b64 v[22:23], v39 offset:10400
	ds_read_b64 v[18:19], v32 offset:4992
	;; [unrolled: 1-line block ×3, first 2 shown]
.LBB0_19:
	s_or_b64 exec, exec, s[4:5]
	s_movk_i32 s4, 0x4f
	v_mul_lo_u16_sdwa v33, v35, s4 dst_sel:DWORD dst_unused:UNUSED_PAD src0_sel:BYTE_0 src1_sel:DWORD
	v_lshrrev_b16_e32 v33, 12, v33
	v_mul_lo_u16_e32 v43, 52, v33
	v_sub_u16_e32 v59, v35, v43
	v_mov_b32_e32 v43, 4
	s_movk_i32 s6, 0x4ec5
	v_lshlrev_b32_sdwa v51, v43, v59 dst_sel:DWORD dst_unused:UNUSED_PAD src0_sel:DWORD src1_sel:BYTE_0
	v_mul_u32_u24_sdwa v43, v38, s6 dst_sel:DWORD dst_unused:UNUSED_PAD src0_sel:WORD_0 src1_sel:DWORD
	v_lshrrev_b32_e32 v60, 20, v43
	v_mul_lo_u16_e32 v43, 52, v60
	v_sub_u16_e32 v38, v38, v43
	v_lshlrev_b32_e32 v52, 4, v38
	global_load_dwordx4 v[43:46], v51, s[8:9] offset:312
	global_load_dwordx4 v[47:50], v52, s[8:9] offset:312
	v_mul_u32_u24_sdwa v51, v37, s6 dst_sel:DWORD dst_unused:UNUSED_PAD src0_sel:WORD_0 src1_sel:DWORD
	v_lshrrev_b32_e32 v61, 20, v51
	v_mul_lo_u16_e32 v51, 52, v61
	v_mul_u32_u24_sdwa v52, v36, s6 dst_sel:DWORD dst_unused:UNUSED_PAD src0_sel:WORD_0 src1_sel:DWORD
	v_sub_u16_e32 v37, v37, v51
	v_lshrrev_b32_e32 v62, 20, v52
	v_lshlrev_b32_e32 v51, 4, v37
	v_mul_lo_u16_e32 v55, 52, v62
	global_load_dwordx4 v[51:54], v51, s[8:9] offset:312
	v_sub_u16_e32 v36, v36, v55
	v_lshlrev_b32_e32 v55, 4, v36
	global_load_dwordx4 v[55:58], v55, s[8:9] offset:312
	v_mul_u32_u24_e32 v33, 0x4e0, v33
	s_waitcnt vmcnt(0) lgkmcnt(0)
	s_barrier
	v_mul_f32_e32 v63, v44, v1
	v_mul_f32_e32 v44, v44, v0
	;; [unrolled: 1-line block ×6, first 2 shown]
	v_fmac_f32_e32 v44, v43, v1
	v_fmac_f32_e32 v46, v45, v5
	v_mul_f32_e32 v65, v48, v3
	v_mul_f32_e32 v48, v48, v2
	v_fma_f32 v0, v43, v0, -v63
	v_fma_f32 v1, v45, v4, -v64
	v_fmac_f32_e32 v50, v49, v7
	v_add_f32_e32 v7, v44, v46
	v_mul_f32_e32 v67, v52, v13
	v_mul_f32_e32 v52, v52, v12
	;; [unrolled: 1-line block ×4, first 2 shown]
	v_fmac_f32_e32 v48, v47, v3
	v_fma_f32 v3, v49, v6, -v66
	v_add_f32_e32 v5, v0, v1
	v_add_f32_e32 v6, v31, v44
	v_fmac_f32_e32 v31, -0.5, v7
	v_fma_f32 v12, v51, v12, -v67
	v_fmac_f32_e32 v52, v51, v13
	v_fma_f32 v13, v53, v8, -v68
	v_fmac_f32_e32 v54, v53, v9
	v_add_f32_e32 v4, v30, v0
	v_sub_f32_e32 v9, v0, v1
	v_fma_f32 v30, -0.5, v5, v30
	v_mov_b32_e32 v5, v31
	v_mul_f32_e32 v69, v56, v15
	v_mul_f32_e32 v56, v56, v14
	;; [unrolled: 1-line block ×4, first 2 shown]
	v_fma_f32 v2, v47, v2, -v65
	v_fmac_f32_e32 v31, 0x3f5db3d7, v9
	v_fmac_f32_e32 v5, 0xbf5db3d7, v9
	v_add_f32_e32 v9, v12, v13
	v_fma_f32 v43, v55, v14, -v69
	v_fmac_f32_e32 v56, v55, v15
	v_fma_f32 v15, v10, v57, -v70
	v_fmac_f32_e32 v58, v11, v57
	v_sub_f32_e32 v8, v44, v46
	v_add_f32_e32 v10, v26, v2
	v_add_f32_e32 v11, v2, v3
	v_sub_f32_e32 v14, v48, v50
	v_add_f32_e32 v44, v27, v48
	v_add_f32_e32 v45, v48, v50
	;; [unrolled: 1-line block ×3, first 2 shown]
	v_fma_f32 v28, -0.5, v9, v28
	v_sub_f32_e32 v47, v2, v3
	v_add_f32_e32 v2, v10, v3
	v_fma_f32 v26, -0.5, v11, v26
	v_sub_f32_e32 v9, v52, v54
	v_mov_b32_e32 v10, v28
	v_add_f32_e32 v11, v52, v54
	v_add_f32_e32 v0, v4, v1
	v_mov_b32_e32 v4, v30
	v_fmac_f32_e32 v10, 0x3f5db3d7, v9
	v_fmac_f32_e32 v28, 0xbf5db3d7, v9
	v_add_f32_e32 v9, v29, v52
	v_fmac_f32_e32 v29, -0.5, v11
	v_fmac_f32_e32 v30, 0xbf5db3d7, v8
	v_fmac_f32_e32 v4, 0x3f5db3d7, v8
	v_add_f32_e32 v8, v48, v13
	v_sub_f32_e32 v12, v12, v13
	v_mov_b32_e32 v11, v29
	v_add_f32_e32 v13, v43, v15
	v_add_f32_e32 v1, v6, v46
	v_mov_b32_e32 v6, v26
	v_fmac_f32_e32 v11, 0xbf5db3d7, v12
	v_fmac_f32_e32 v29, 0x3f5db3d7, v12
	v_add_f32_e32 v12, v24, v43
	v_fma_f32 v24, -0.5, v13, v24
	v_add_f32_e32 v3, v44, v50
	v_fmac_f32_e32 v26, 0xbf5db3d7, v14
	v_fmac_f32_e32 v6, 0x3f5db3d7, v14
	v_sub_f32_e32 v13, v56, v58
	v_mov_b32_e32 v14, v24
	v_add_f32_e32 v44, v56, v58
	v_fmac_f32_e32 v14, 0x3f5db3d7, v13
	v_fmac_f32_e32 v24, 0xbf5db3d7, v13
	v_add_f32_e32 v13, v25, v56
	v_fmac_f32_e32 v25, -0.5, v44
	v_add_f32_e32 v12, v12, v15
	v_sub_f32_e32 v43, v43, v15
	v_mov_b32_e32 v15, v25
	v_fmac_f32_e32 v15, 0xbf5db3d7, v43
	v_fmac_f32_e32 v25, 0x3f5db3d7, v43
	v_mov_b32_e32 v43, 3
	v_lshlrev_b32_sdwa v43, v43, v59 dst_sel:DWORD dst_unused:UNUSED_PAD src0_sel:DWORD src1_sel:BYTE_0
	v_fmac_f32_e32 v27, -0.5, v45
	v_add3_u32 v33, 0, v33, v43
	v_mov_b32_e32 v7, v27
	ds_write2_b64 v33, v[0:1], v[4:5] offset1:52
	ds_write_b64 v33, v[30:31] offset:832
	v_mul_u32_u24_e32 v0, 0x4e0, v60
	v_lshlrev_b32_e32 v1, 3, v38
	v_fmac_f32_e32 v7, 0xbf5db3d7, v47
	v_add3_u32 v0, 0, v0, v1
	v_fmac_f32_e32 v27, 0x3f5db3d7, v47
	ds_write2_b64 v0, v[2:3], v[6:7] offset1:52
	ds_write_b64 v0, v[26:27] offset:832
	v_mul_u32_u24_e32 v0, 0x4e0, v61
	v_lshlrev_b32_e32 v1, 3, v37
	v_add_f32_e32 v9, v9, v54
	v_add3_u32 v0, 0, v0, v1
	ds_write2_b64 v0, v[8:9], v[10:11] offset1:52
	ds_write_b64 v0, v[28:29] offset:832
	v_mul_u32_u24_e32 v0, 0x4e0, v62
	v_lshlrev_b32_e32 v1, 3, v36
	v_add_f32_e32 v13, v13, v58
	v_add3_u32 v0, 0, v0, v1
	ds_write2_b64 v0, v[12:13], v[14:15] offset1:52
	ds_write_b64 v0, v[24:25] offset:832
	s_and_saveexec_b64 s[4:5], s[0:1]
	s_cbranch_execz .LBB0_21
; %bb.20:
	v_add_u32_e32 v0, 0x270, v35
	v_mul_u32_u24_sdwa v1, v0, s6 dst_sel:DWORD dst_unused:UNUSED_PAD src0_sel:WORD_0 src1_sel:DWORD
	v_lshrrev_b32_e32 v1, 20, v1
	v_mul_lo_u16_e32 v1, 52, v1
	v_sub_u16_e32 v4, v0, v1
	v_lshlrev_b32_e32 v0, 4, v4
	global_load_dwordx4 v[0:3], v0, s[8:9] offset:312
	v_lshl_add_u32 v6, v4, 3, 0
	v_add_u32_e32 v7, 0x3800, v6
	s_waitcnt vmcnt(0)
	v_mul_f32_e32 v4, v23, v1
	v_mul_f32_e32 v5, v21, v3
	;; [unrolled: 1-line block ×4, first 2 shown]
	v_fma_f32 v4, v22, v0, -v4
	v_fma_f32 v5, v20, v2, -v5
	v_fmac_f32_e32 v1, v23, v0
	v_fmac_f32_e32 v3, v21, v2
	v_add_f32_e32 v0, v1, v3
	v_add_f32_e32 v2, v4, v5
	v_sub_f32_e32 v8, v4, v5
	v_sub_f32_e32 v9, v1, v3
	v_add_f32_e32 v10, v19, v1
	v_add_f32_e32 v4, v18, v4
	v_fma_f32 v1, -0.5, v0, v19
	v_fma_f32 v0, -0.5, v2, v18
	v_add_f32_e32 v3, v10, v3
	v_add_f32_e32 v2, v4, v5
	v_mov_b32_e32 v5, v1
	v_mov_b32_e32 v4, v0
	v_fmac_f32_e32 v1, 0xbf5db3d7, v8
	v_fmac_f32_e32 v0, 0x3f5db3d7, v9
	;; [unrolled: 1-line block ×4, first 2 shown]
	ds_write2_b64 v7, v[2:3], v[0:1] offset0:80 offset1:132
	ds_write_b64 v6, v[4:5] offset:15808
.LBB0_21:
	s_or_b64 exec, exec, s[4:5]
	s_waitcnt lgkmcnt(0)
	s_barrier
	s_and_saveexec_b64 s[0:1], vcc
	s_cbranch_execz .LBB0_23
; %bb.22:
	v_mul_u32_u24_e32 v0, 12, v35
	v_lshlrev_b32_e32 v0, 3, v0
	global_load_dwordx4 v[4:7], v0, s[8:9] offset:1224
	global_load_dwordx4 v[18:21], v0, s[8:9] offset:1144
	global_load_dwordx4 v[27:30], v0, s[8:9] offset:1208
	global_load_dwordx4 v[35:38], v0, s[8:9] offset:1160
	global_load_dwordx4 v[43:46], v0, s[8:9] offset:1192
	global_load_dwordx4 v[47:50], v0, s[8:9] offset:1176
	v_add_u32_e32 v8, 0x3400, v39
	ds_read_b64 v[2:3], v39
	ds_read_b64 v[0:1], v41
	;; [unrolled: 1-line block ×4, first 2 shown]
	ds_read_b64 v[31:32], v32 offset:4992
	ds_read2_b64 v[51:54], v8 offset0:52 offset1:208
	v_add_u32_e32 v9, 0x2a00, v39
	v_add_u32_e32 v10, 0x2000, v39
	;; [unrolled: 1-line block ×3, first 2 shown]
	ds_read2_b64 v[39:42], v9 offset0:60 offset1:216
	ds_read2_b64 v[55:58], v10 offset0:68 offset1:224
	;; [unrolled: 1-line block ×3, first 2 shown]
	s_mov_b32 s6, 0x3df6dbef
	s_mov_b32 s1, 0xbf788fa5
	;; [unrolled: 1-line block ×6, first 2 shown]
	s_waitcnt vmcnt(5) lgkmcnt(3)
	v_mul_f32_e32 v8, v6, v54
	s_waitcnt vmcnt(4)
	v_mul_f32_e32 v10, v18, v1
	v_mul_f32_e32 v15, v7, v54
	;; [unrolled: 1-line block ×4, first 2 shown]
	v_fmac_f32_e32 v8, v7, v53
	v_fmac_f32_e32 v10, v19, v0
	v_mul_f32_e32 v1, v19, v1
	v_mul_f32_e32 v26, v5, v52
	s_waitcnt vmcnt(1) lgkmcnt(1)
	v_mul_f32_e32 v23, v45, v58
	v_mul_f32_e32 v58, v46, v58
	v_fma_f32 v24, v53, v6, -v15
	v_fmac_f32_e32 v9, v5, v51
	v_fmac_f32_e32 v12, v21, v63
	v_add_f32_e32 v15, v8, v10
	v_mul_f32_e32 v33, v21, v64
	v_mul_f32_e32 v11, v29, v42
	;; [unrolled: 1-line block ×3, first 2 shown]
	v_fma_f32 v26, v51, v4, -v26
	v_fma_f32 v51, v18, v0, -v1
	v_fmac_f32_e32 v23, v46, v57
	v_fma_f32 v45, v57, v45, -v58
	v_add_f32_e32 v18, v9, v12
	v_mul_f32_e32 v57, 0x3f62ad3f, v15
	v_mul_f32_e32 v14, v35, v66
	v_fma_f32 v33, v20, v63, -v33
	v_fmac_f32_e32 v11, v30, v41
	v_fma_f32 v53, v41, v29, -v42
	v_sub_f32_e32 v41, v51, v24
	v_mul_f32_e32 v58, 0x3f116cb1, v18
	v_mov_b32_e32 v0, v57
	v_fmac_f32_e32 v14, v36, v65
	v_sub_f32_e32 v42, v33, v26
	v_mov_b32_e32 v1, v58
	v_fmac_f32_e32 v0, 0x3eedf032, v41
	v_mul_f32_e32 v52, v36, v66
	v_mul_f32_e32 v13, v27, v40
	;; [unrolled: 1-line block ×3, first 2 shown]
	s_waitcnt vmcnt(0) lgkmcnt(0)
	v_mul_f32_e32 v25, v47, v60
	v_mul_f32_e32 v54, v48, v60
	v_add_f32_e32 v19, v11, v14
	v_fmac_f32_e32 v1, 0x3f52af12, v42
	v_add_f32_e32 v0, v0, v3
	v_fma_f32 v52, v35, v65, -v52
	v_fmac_f32_e32 v13, v28, v39
	v_fma_f32 v64, v39, v27, -v40
	v_fmac_f32_e32 v25, v48, v59
	v_fma_f32 v46, v47, v59, -v54
	v_mul_f32_e32 v59, 0x3df6dbef, v19
	v_add_f32_e32 v0, v0, v1
	v_mul_f32_e32 v67, v49, v62
	v_mul_f32_e32 v1, v50, v62
	v_sub_f32_e32 v39, v10, v8
	v_mul_f32_e32 v60, v43, v56
	v_sub_f32_e32 v47, v52, v53
	v_mov_b32_e32 v4, v59
	v_fmac_f32_e32 v67, v50, v61
	v_fma_f32 v49, v61, v49, -v1
	v_mul_f32_e32 v1, v44, v56
	v_mul_f32_e32 v50, 0xbeedf032, v39
	v_sub_f32_e32 v40, v12, v9
	v_fmac_f32_e32 v60, v44, v55
	v_fmac_f32_e32 v4, 0x3f7e222b, v47
	v_fma_f32 v43, v55, v43, -v1
	v_add_f32_e32 v44, v24, v51
	v_mov_b32_e32 v1, v50
	v_mul_f32_e32 v56, 0xbf52af12, v40
	v_mul_f32_e32 v22, v37, v32
	v_add_f32_e32 v0, v0, v4
	v_fmac_f32_e32 v1, 0x3f62ad3f, v44
	v_add_f32_e32 v55, v26, v33
	v_mov_b32_e32 v4, v56
	v_sub_f32_e32 v62, v14, v11
	v_fmac_f32_e32 v22, v38, v31
	v_add_f32_e32 v1, v1, v2
	v_fmac_f32_e32 v4, 0x3f116cb1, v55
	v_mul_f32_e32 v68, 0xbf7e222b, v62
	v_mul_f32_e32 v32, v38, v32
	v_add_f32_e32 v1, v1, v4
	v_add_f32_e32 v61, v53, v52
	v_mov_b32_e32 v4, v68
	v_sub_f32_e32 v70, v22, v13
	v_fma_f32 v63, v37, v31, -v32
	v_fmac_f32_e32 v4, 0x3df6dbef, v61
	v_mul_f32_e32 v71, 0xbf6f5d39, v70
	v_add_f32_e32 v20, v13, v22
	v_add_f32_e32 v1, v1, v4
	;; [unrolled: 1-line block ×3, first 2 shown]
	v_mov_b32_e32 v4, v71
	v_sub_f32_e32 v73, v25, v23
	v_add_f32_e32 v21, v23, v25
	v_mul_f32_e32 v65, 0xbeb58ec6, v20
	v_fmac_f32_e32 v4, 0xbeb58ec6, v69
	v_mul_f32_e32 v74, 0xbf29c268, v73
	v_sub_f32_e32 v48, v63, v64
	v_mul_f32_e32 v66, 0xbf3f9e67, v21
	v_mov_b32_e32 v5, v65
	v_add_f32_e32 v1, v1, v4
	v_add_f32_e32 v72, v45, v46
	v_mov_b32_e32 v4, v74
	v_add_f32_e32 v75, v60, v67
	v_sub_f32_e32 v54, v46, v45
	v_mov_b32_e32 v6, v66
	v_fmac_f32_e32 v5, 0x3f6f5d39, v48
	v_fmac_f32_e32 v4, 0xbf3f9e67, v72
	v_mul_f32_e32 v76, 0xbf788fa5, v75
	v_fmac_f32_e32 v6, 0x3f29c268, v54
	v_add_f32_e32 v0, v0, v5
	v_add_f32_e32 v4, v1, v4
	v_sub_f32_e32 v77, v49, v43
	v_mov_b32_e32 v1, v76
	v_sub_f32_e32 v79, v67, v60
	v_add_f32_e32 v0, v0, v6
	v_fmac_f32_e32 v1, 0x3e750f2a, v77
	v_mul_f32_e32 v80, 0xbe750f2a, v79
	v_add_f32_e32 v1, v0, v1
	v_add_f32_e32 v78, v43, v49
	v_mov_b32_e32 v0, v80
	v_fmac_f32_e32 v0, 0xbf788fa5, v78
	v_mul_f32_e32 v37, 0x3df6dbef, v15
	v_add_f32_e32 v0, v4, v0
	v_mov_b32_e32 v4, v37
	v_mul_f32_e32 v38, 0xbf788fa5, v18
	v_fmac_f32_e32 v4, 0x3f7e222b, v41
	v_mov_b32_e32 v5, v38
	v_add_f32_e32 v4, v4, v3
	v_fmac_f32_e32 v5, 0x3e750f2a, v42
	v_mul_f32_e32 v81, 0xbeb58ec6, v19
	v_add_f32_e32 v4, v4, v5
	v_mov_b32_e32 v5, v81
	v_fmac_f32_e32 v5, 0xbf6f5d39, v47
	v_mul_f32_e32 v82, 0x3f62ad3f, v20
	v_add_f32_e32 v4, v4, v5
	v_mov_b32_e32 v5, v82
	v_fmac_f32_e32 v5, 0xbeedf032, v48
	v_mul_f32_e32 v83, 0x3f116cb1, v21
	v_add_f32_e32 v4, v4, v5
	v_mov_b32_e32 v5, v83
	v_fmac_f32_e32 v5, 0x3f52af12, v54
	v_mul_f32_e32 v84, 0xbf7e222b, v39
	v_add_f32_e32 v4, v4, v5
	v_mov_b32_e32 v5, v84
	v_mul_f32_e32 v85, 0xbe750f2a, v40
	v_fmac_f32_e32 v5, 0x3df6dbef, v44
	v_mov_b32_e32 v6, v85
	v_add_f32_e32 v5, v5, v2
	v_fmac_f32_e32 v6, 0xbf788fa5, v55
	v_mul_f32_e32 v86, 0x3f6f5d39, v62
	v_add_f32_e32 v5, v5, v6
	v_mov_b32_e32 v6, v86
	v_fmac_f32_e32 v6, 0xbeb58ec6, v61
	v_mul_f32_e32 v87, 0x3eedf032, v70
	v_add_f32_e32 v5, v5, v6
	v_mov_b32_e32 v6, v87
	;; [unrolled: 4-line block ×6, first 2 shown]
	v_mul_f32_e32 v36, 0xbf3f9e67, v18
	v_fmac_f32_e32 v6, 0x3f6f5d39, v41
	v_mov_b32_e32 v7, v36
	v_add_f32_e32 v6, v6, v3
	v_fmac_f32_e32 v7, 0xbf29c268, v42
	v_mul_f32_e32 v91, 0x3f62ad3f, v19
	v_add_f32_e32 v6, v6, v7
	v_mov_b32_e32 v7, v91
	v_fmac_f32_e32 v7, 0xbeedf032, v47
	v_mul_f32_e32 v92, 0x3df6dbef, v20
	v_add_f32_e32 v6, v6, v7
	v_mov_b32_e32 v7, v92
	;; [unrolled: 4-line block ×4, first 2 shown]
	v_mul_f32_e32 v95, 0x3f29c268, v40
	v_fmac_f32_e32 v7, 0xbeb58ec6, v44
	v_mov_b32_e32 v27, v95
	v_add_f32_e32 v7, v7, v2
	v_fmac_f32_e32 v27, 0xbf3f9e67, v55
	v_mul_f32_e32 v96, 0x3eedf032, v62
	v_add_f32_e32 v7, v7, v27
	v_mov_b32_e32 v27, v96
	v_fmac_f32_e32 v27, 0x3f62ad3f, v61
	v_mul_f32_e32 v97, 0xbf7e222b, v70
	v_add_f32_e32 v7, v7, v27
	v_mov_b32_e32 v27, v97
	;; [unrolled: 4-line block ×6, first 2 shown]
	v_mul_f32_e32 v32, 0x3df6dbef, v18
	v_fmac_f32_e32 v27, 0x3f29c268, v41
	v_mov_b32_e32 v28, v32
	v_add_f32_e32 v27, v27, v3
	v_fmac_f32_e32 v28, 0xbf7e222b, v42
	v_mul_f32_e32 v101, 0x3f116cb1, v19
	v_add_f32_e32 v27, v27, v28
	v_mov_b32_e32 v28, v101
	v_fmac_f32_e32 v28, 0x3f52af12, v47
	v_mul_f32_e32 v102, 0xbf788fa5, v20
	v_add_f32_e32 v27, v27, v28
	v_mov_b32_e32 v28, v102
	;; [unrolled: 4-line block ×4, first 2 shown]
	v_mul_f32_e32 v105, 0x3f7e222b, v40
	v_fmac_f32_e32 v28, 0xbf3f9e67, v44
	v_mov_b32_e32 v29, v105
	v_add_f32_e32 v28, v28, v2
	v_fmac_f32_e32 v29, 0x3df6dbef, v55
	v_mul_f32_e32 v106, 0xbf52af12, v62
	v_add_f32_e32 v28, v28, v29
	v_mov_b32_e32 v29, v106
	v_fmac_f32_e32 v37, 0xbf7e222b, v41
	v_fmac_f32_e32 v29, 0x3f116cb1, v61
	v_mul_f32_e32 v107, 0x3e750f2a, v70
	v_add_f32_e32 v37, v37, v3
	v_fmac_f32_e32 v38, 0xbe750f2a, v42
	v_add_f32_e32 v28, v28, v29
	v_mov_b32_e32 v29, v107
	v_add_f32_e32 v37, v37, v38
	v_fmac_f32_e32 v81, 0x3f6f5d39, v47
	v_fma_f32 v38, v44, s6, -v84
	v_add_f32_e32 v10, v10, v3
	v_fmac_f32_e32 v29, 0xbf788fa5, v69
	v_mul_f32_e32 v108, 0x3eedf032, v73
	v_add_f32_e32 v37, v37, v81
	v_add_f32_e32 v38, v38, v2
	v_fma_f32 v81, v55, s1, -v85
	v_add_f32_e32 v10, v10, v12
	v_add_f32_e32 v28, v28, v29
	v_mov_b32_e32 v29, v108
	v_fmac_f32_e32 v82, 0x3eedf032, v48
	v_add_f32_e32 v38, v38, v81
	v_fma_f32 v81, v61, s7, -v86
	v_add_f32_e32 v10, v10, v14
	v_fmac_f32_e32 v29, 0x3f62ad3f, v72
	v_mul_f32_e32 v109, 0xbeb58ec6, v75
	v_add_f32_e32 v37, v37, v82
	v_fmac_f32_e32 v83, 0xbf52af12, v54
	v_add_f32_e32 v38, v38, v81
	v_fma_f32 v81, v69, s0, -v87
	v_add_f32_e32 v10, v10, v22
	v_add_f32_e32 v29, v28, v29
	v_mov_b32_e32 v28, v109
	v_add_f32_e32 v37, v37, v83
	v_add_f32_e32 v38, v38, v81
	v_fma_f32 v81, v72, s5, -v88
	v_fmac_f32_e32 v89, 0xbf29c268, v77
	v_add_f32_e32 v10, v10, v25
	v_fmac_f32_e32 v28, 0x3f6f5d39, v77
	v_mul_f32_e32 v110, 0xbf6f5d39, v79
	v_add_f32_e32 v81, v38, v81
	v_add_f32_e32 v38, v37, v89
	v_fma_f32 v37, v78, s4, -v90
	v_add_f32_e32 v10, v10, v67
	v_add_f32_e32 v28, v27, v28
	v_mov_b32_e32 v27, v110
	v_add_f32_e32 v37, v81, v37
	v_mul_f32_e32 v81, 0xbf52af12, v41
	v_add_f32_e32 v10, v60, v10
	v_fmac_f32_e32 v27, 0xbeb58ec6, v78
	v_mul_f32_e32 v111, 0xbe750f2a, v41
	v_mov_b32_e32 v82, v81
	v_mul_f32_e32 v83, 0xbf6f5d39, v42
	v_add_f32_e32 v10, v23, v10
	v_add_f32_e32 v27, v29, v27
	v_mov_b32_e32 v29, v111
	v_mul_f32_e32 v112, 0x3eedf032, v42
	v_fmac_f32_e32 v82, 0x3f116cb1, v15
	v_mov_b32_e32 v84, v83
	v_add_f32_e32 v10, v13, v10
	v_fmac_f32_e32 v29, 0xbf788fa5, v15
	v_mov_b32_e32 v30, v112
	v_add_f32_e32 v82, v82, v3
	v_fmac_f32_e32 v84, 0xbeb58ec6, v18
	v_add_f32_e32 v10, v11, v10
	v_add_f32_e32 v29, v29, v3
	v_fmac_f32_e32 v30, 0x3f62ad3f, v18
	v_mul_f32_e32 v113, 0xbf29c268, v47
	v_add_f32_e32 v82, v82, v84
	v_mul_f32_e32 v84, 0xbe750f2a, v47
	v_add_f32_e32 v9, v9, v10
	v_add_f32_e32 v10, v51, v2
	v_add_f32_e32 v29, v29, v30
	v_mov_b32_e32 v30, v113
	v_mov_b32_e32 v85, v84
	v_add_f32_e32 v10, v10, v33
	v_fmac_f32_e32 v30, 0xbf3f9e67, v19
	v_mul_f32_e32 v114, 0x3f52af12, v48
	v_fmac_f32_e32 v85, 0xbf788fa5, v19
	v_add_f32_e32 v10, v10, v52
	v_add_f32_e32 v29, v29, v30
	v_mov_b32_e32 v30, v114
	v_add_f32_e32 v82, v82, v85
	v_mul_f32_e32 v85, 0x3f29c268, v48
	v_add_f32_e32 v10, v10, v63
	v_fmac_f32_e32 v30, 0x3f116cb1, v20
	v_mul_f32_e32 v115, 0xbf6f5d39, v54
	v_mov_b32_e32 v86, v85
	v_add_f32_e32 v10, v10, v46
	v_add_f32_e32 v29, v29, v30
	v_mov_b32_e32 v30, v115
	v_fmac_f32_e32 v86, 0xbf3f9e67, v20
	v_add_f32_e32 v10, v10, v49
	v_fmac_f32_e32 v30, 0xbeb58ec6, v21
	v_mul_f32_e32 v116, 0xbe750f2a, v39
	v_add_f32_e32 v82, v82, v86
	v_mul_f32_e32 v86, 0x3f7e222b, v54
	v_add_f32_e32 v10, v43, v10
	v_add_f32_e32 v29, v29, v30
	v_fma_f32 v30, v44, s1, -v116
	v_mul_f32_e32 v117, 0x3eedf032, v40
	v_mov_b32_e32 v87, v86
	v_add_f32_e32 v10, v45, v10
	v_add_f32_e32 v30, v30, v2
	v_fma_f32 v118, v55, s0, -v117
	v_fmac_f32_e32 v87, 0x3df6dbef, v21
	v_add_f32_e32 v10, v64, v10
	v_add_f32_e32 v30, v30, v118
	v_mul_f32_e32 v118, 0xbf29c268, v62
	v_add_f32_e32 v82, v82, v87
	v_mul_f32_e32 v87, 0xbf52af12, v39
	v_add_f32_e32 v10, v53, v10
	v_fma_f32 v119, v61, s4, -v118
	v_fma_f32 v39, v44, s5, -v87
	v_mul_f32_e32 v88, 0xbf6f5d39, v40
	v_add_f32_e32 v10, v26, v10
	v_add_f32_e32 v30, v30, v119
	v_mul_f32_e32 v119, 0x3f52af12, v70
	v_fmac_f32_e32 v31, 0xbf29c268, v41
	v_fmac_f32_e32 v35, 0xbf6f5d39, v41
	v_add_f32_e32 v39, v39, v2
	v_fma_f32 v40, v55, s7, -v88
	v_mul_f32_e32 v62, 0xbe750f2a, v62
	v_fmac_f32_e32 v57, 0xbeedf032, v41
	v_add_f32_e32 v9, v8, v9
	v_add_f32_e32 v8, v24, v10
	v_fma_f32 v10, v15, s1, -v111
	v_fma_f32 v12, v15, s5, -v81
	;; [unrolled: 1-line block ×3, first 2 shown]
	v_add_f32_e32 v31, v31, v3
	v_fmac_f32_e32 v32, 0x3f7e222b, v42
	v_add_f32_e32 v35, v35, v3
	v_fmac_f32_e32 v36, 0x3f29c268, v42
	v_add_f32_e32 v39, v39, v40
	v_fma_f32 v40, v61, s1, -v62
	v_mul_f32_e32 v70, 0x3f29c268, v70
	v_fmac_f32_e32 v58, 0xbf52af12, v42
	v_add_f32_e32 v41, v57, v3
	v_fma_f32 v42, v44, s0, -v50
	v_add_f32_e32 v10, v10, v3
	v_add_f32_e32 v3, v12, v3
	v_fma_f32 v12, v18, s7, -v83
	v_add_f32_e32 v30, v30, v120
	v_mul_f32_e32 v120, 0xbf6f5d39, v73
	v_add_f32_e32 v31, v31, v32
	v_fmac_f32_e32 v101, 0xbf52af12, v47
	v_fma_f32 v32, v44, s4, -v104
	v_add_f32_e32 v35, v35, v36
	v_fmac_f32_e32 v91, 0x3eedf032, v47
	v_fma_f32 v36, v44, s7, -v94
	v_add_f32_e32 v39, v39, v40
	v_fma_f32 v40, v69, s4, -v70
	v_mul_f32_e32 v73, 0x3f7e222b, v73
	v_add_f32_e32 v41, v41, v58
	v_fmac_f32_e32 v59, 0xbf7e222b, v47
	v_add_f32_e32 v42, v42, v2
	v_fma_f32 v47, v55, s5, -v56
	v_fma_f32 v11, v18, s0, -v112
	v_add_f32_e32 v3, v3, v12
	v_fma_f32 v12, v19, s1, -v84
	v_add_f32_e32 v31, v31, v101
	v_add_f32_e32 v32, v32, v2
	v_fma_f32 v101, v55, s6, -v105
	v_add_f32_e32 v35, v35, v91
	;; [unrolled: 3-line block ×3, first 2 shown]
	v_fma_f32 v40, v72, s6, -v73
	v_mul_f32_e32 v89, 0x3eedf032, v77
	v_add_f32_e32 v41, v41, v59
	v_fmac_f32_e32 v65, 0xbf6f5d39, v48
	v_add_f32_e32 v42, v42, v47
	v_fma_f32 v47, v61, s6, -v68
	v_add_f32_e32 v10, v10, v11
	v_fma_f32 v11, v19, s4, -v113
	;; [unrolled: 2-line block ×5, first 2 shown]
	v_add_f32_e32 v39, v39, v40
	v_mov_b32_e32 v40, v89
	v_add_f32_e32 v41, v41, v65
	v_fmac_f32_e32 v66, 0xbf29c268, v54
	v_add_f32_e32 v42, v42, v47
	v_fma_f32 v47, v69, s7, -v71
	v_add_f32_e32 v10, v10, v11
	v_fma_f32 v11, v20, s5, -v114
	;; [unrolled: 2-line block ×3, first 2 shown]
	v_mul_f32_e32 v122, 0x3f7e222b, v77
	v_mul_f32_e32 v123, 0x3f7e222b, v79
	v_add_f32_e32 v32, v32, v101
	v_fma_f32 v101, v69, s1, -v107
	v_add_f32_e32 v36, v36, v91
	v_fma_f32 v91, v69, s6, -v97
	v_fmac_f32_e32 v40, 0x3f62ad3f, v75
	v_mul_f32_e32 v79, 0x3eedf032, v79
	v_add_f32_e32 v41, v41, v66
	v_fmac_f32_e32 v76, 0xbe750f2a, v77
	v_add_f32_e32 v42, v42, v47
	v_fma_f32 v47, v72, s4, -v74
	v_add_f32_e32 v10, v10, v11
	v_fma_f32 v11, v21, s7, -v115
	;; [unrolled: 2-line block ×6, first 2 shown]
	v_add_f32_e32 v47, v42, v47
	v_add_f32_e32 v42, v41, v76
	v_fma_f32 v41, v78, s1, -v80
	v_add_f32_e32 v10, v10, v11
	v_fma_f32 v11, v75, s6, -v122
	v_fmac_f32_e32 v116, 0xbf788fa5, v44
	v_add_f32_e32 v3, v3, v12
	v_fmac_f32_e32 v87, 0x3f116cb1, v44
	v_mad_u64_u32 v[12:13], s[0:1], s2, v34, 0
	v_add_f32_e32 v11, v10, v11
	v_add_f32_e32 v10, v116, v2
	;; [unrolled: 1-line block ×3, first 2 shown]
	v_fmac_f32_e32 v88, 0xbeb58ec6, v55
	v_add_f32_e32 v2, v2, v88
	v_fmac_f32_e32 v62, 0xbf788fa5, v61
	v_add_f32_e32 v2, v2, v62
	;; [unrolled: 2-line block ×3, first 2 shown]
	v_mov_b32_e32 v2, v13
	v_mad_u64_u32 v[13:14], s[0:1], s3, v34, v[2:3]
	v_fmac_f32_e32 v73, 0x3df6dbef, v72
	v_mov_b32_e32 v14, s13
	v_add_co_u32_e32 v18, vcc, s12, v16
	v_add_u32_e32 v16, 0x9c, v34
	v_add_f32_e32 v2, v15, v73
	v_addc_co_u32_e32 v19, vcc, v14, v17, vcc
	v_mad_u64_u32 v[14:15], s[0:1], s2, v16, 0
	v_add_u32_e32 v20, 0x138, v34
	v_lshlrev_b64 v[12:13], 3, v[12:13]
	v_mad_u64_u32 v[15:16], s[0:1], s3, v16, v[15:16]
	v_mad_u64_u32 v[16:17], s[0:1], s2, v20, 0
	v_add_co_u32_e32 v12, vcc, v18, v12
	v_addc_co_u32_e32 v13, vcc, v19, v13, vcc
	global_store_dwordx2 v[12:13], v[8:9], off
	v_mov_b32_e32 v12, v17
	v_mad_u64_u32 v[12:13], s[0:1], s3, v20, v[12:13]
	v_lshlrev_b64 v[8:9], 3, v[14:15]
	v_add_u32_e32 v14, 0x1d4, v34
	v_mov_b32_e32 v17, v12
	v_mad_u64_u32 v[12:13], s[0:1], s2, v14, 0
	v_add_co_u32_e32 v8, vcc, v18, v8
	v_add_f32_e32 v41, v47, v41
	v_addc_co_u32_e32 v9, vcc, v19, v9, vcc
	global_store_dwordx2 v[8:9], v[41:42], off
	v_lshlrev_b64 v[8:9], 3, v[16:17]
	v_mad_u64_u32 v[13:14], s[0:1], s3, v14, v[13:14]
	v_add_u32_e32 v16, 0x270, v34
	v_mad_u64_u32 v[14:15], s[0:1], s2, v16, 0
	v_add_co_u32_e32 v8, vcc, v18, v8
	v_add_f32_e32 v39, v39, v82
	v_addc_co_u32_e32 v9, vcc, v19, v9, vcc
	global_store_dwordx2 v[8:9], v[39:40], off
	v_lshlrev_b64 v[8:9], 3, v[12:13]
	v_mov_b32_e32 v12, v15
	v_mad_u64_u32 v[12:13], s[0:1], s3, v16, v[12:13]
	v_add_co_u32_e32 v8, vcc, v18, v8
	v_addc_co_u32_e32 v9, vcc, v19, v9, vcc
	v_mov_b32_e32 v15, v12
	global_store_dwordx2 v[8:9], v[37:38], off
	v_lshlrev_b64 v[8:9], 3, v[14:15]
	v_add_u32_e32 v14, 0x30c, v34
	v_mad_u64_u32 v[12:13], s[0:1], s2, v14, 0
	v_fmac_f32_e32 v92, 0xbf7e222b, v48
	v_add_u32_e32 v16, 0x3a8, v34
	v_mad_u64_u32 v[13:14], s[0:1], s3, v14, v[13:14]
	v_add_f32_e32 v35, v35, v92
	v_fmac_f32_e32 v93, 0x3e750f2a, v54
	v_mad_u64_u32 v[14:15], s[0:1], s2, v16, 0
	v_add_f32_e32 v35, v35, v93
	v_fmac_f32_e32 v99, 0x3f52af12, v77
	v_add_f32_e32 v91, v36, v91
	v_add_f32_e32 v36, v35, v99
	v_fma_f32 v35, v78, s5, -v100
	v_add_co_u32_e32 v8, vcc, v18, v8
	v_add_f32_e32 v35, v91, v35
	v_addc_co_u32_e32 v9, vcc, v19, v9, vcc
	global_store_dwordx2 v[8:9], v[35:36], off
	v_lshlrev_b64 v[8:9], 3, v[12:13]
	v_mov_b32_e32 v12, v15
	v_fmac_f32_e32 v102, 0x3e750f2a, v48
	v_mad_u64_u32 v[12:13], s[0:1], s3, v16, v[12:13]
	v_add_f32_e32 v31, v31, v102
	v_fmac_f32_e32 v103, 0x3eedf032, v54
	v_add_f32_e32 v31, v31, v103
	v_fmac_f32_e32 v109, 0xbf6f5d39, v77
	v_add_f32_e32 v101, v32, v101
	v_add_f32_e32 v32, v31, v109
	v_fma_f32 v31, v78, s7, -v110
	v_add_co_u32_e32 v8, vcc, v18, v8
	v_add_f32_e32 v31, v101, v31
	v_addc_co_u32_e32 v9, vcc, v19, v9, vcc
	v_mov_b32_e32 v15, v12
	global_store_dwordx2 v[8:9], v[31:32], off
	v_lshlrev_b64 v[8:9], 3, v[14:15]
	v_add_u32_e32 v14, 0x444, v34
	v_mad_u64_u32 v[12:13], s[0:1], s2, v14, 0
	v_fma_f32 v121, v72, s7, -v120
	v_add_u32_e32 v16, 0x4e0, v34
	v_mad_u64_u32 v[13:14], s[0:1], s3, v14, v[13:14]
	v_add_f32_e32 v121, v30, v121
	v_mov_b32_e32 v30, v122
	v_mad_u64_u32 v[14:15], s[0:1], s2, v16, 0
	v_fmac_f32_e32 v30, 0x3df6dbef, v75
	v_add_f32_e32 v30, v29, v30
	v_fma_f32 v29, v78, s6, -v123
	v_add_co_u32_e32 v8, vcc, v18, v8
	v_add_f32_e32 v29, v121, v29
	v_addc_co_u32_e32 v9, vcc, v19, v9, vcc
	v_fmac_f32_e32 v117, 0x3f62ad3f, v55
	global_store_dwordx2 v[8:9], v[29:30], off
	v_lshlrev_b64 v[8:9], 3, v[12:13]
	v_mov_b32_e32 v12, v15
	v_add_f32_e32 v10, v10, v117
	v_fmac_f32_e32 v118, 0xbf3f9e67, v61
	v_mad_u64_u32 v[12:13], s[0:1], s3, v16, v[12:13]
	v_add_f32_e32 v10, v10, v118
	v_fmac_f32_e32 v119, 0x3f116cb1, v69
	v_add_f32_e32 v10, v10, v119
	v_fmac_f32_e32 v120, 0xbeb58ec6, v72
	v_add_f32_e32 v10, v10, v120
	v_fmac_f32_e32 v123, 0x3df6dbef, v78
	v_add_co_u32_e32 v8, vcc, v18, v8
	v_add_f32_e32 v10, v10, v123
	v_addc_co_u32_e32 v9, vcc, v19, v9, vcc
	v_mov_b32_e32 v15, v12
	v_add_u32_e32 v12, 0x57c, v34
	global_store_dwordx2 v[8:9], v[10:11], off
	v_mad_u64_u32 v[10:11], s[0:1], s2, v12, 0
	v_lshlrev_b64 v[8:9], 3, v[14:15]
	v_add_u32_e32 v14, 0x618, v34
	v_mad_u64_u32 v[11:12], s[0:1], s3, v12, v[11:12]
	v_mad_u64_u32 v[12:13], s[0:1], s2, v14, 0
	v_add_co_u32_e32 v8, vcc, v18, v8
	v_addc_co_u32_e32 v9, vcc, v19, v9, vcc
	global_store_dwordx2 v[8:9], v[27:28], off
	v_lshlrev_b64 v[8:9], 3, v[10:11]
	v_mov_b32_e32 v10, v13
	v_mad_u64_u32 v[10:11], s[0:1], s3, v14, v[10:11]
	v_add_co_u32_e32 v8, vcc, v18, v8
	v_addc_co_u32_e32 v9, vcc, v19, v9, vcc
	v_mov_b32_e32 v13, v10
	v_add_u32_e32 v10, 0x6b4, v34
	global_store_dwordx2 v[8:9], v[6:7], off
	v_mad_u64_u32 v[8:9], s[0:1], s2, v10, 0
	v_lshlrev_b64 v[6:7], 3, v[12:13]
	v_add_u32_e32 v12, 0x750, v34
	v_mad_u64_u32 v[9:10], s[0:1], s3, v10, v[9:10]
	v_mad_u64_u32 v[10:11], s[0:1], s2, v12, 0
	v_add_co_u32_e32 v6, vcc, v18, v6
	v_addc_co_u32_e32 v7, vcc, v19, v7, vcc
	global_store_dwordx2 v[6:7], v[4:5], off
	v_mov_b32_e32 v6, v11
	v_mad_u64_u32 v[6:7], s[0:1], s3, v12, v[6:7]
	v_lshlrev_b64 v[4:5], 3, v[8:9]
	v_fmac_f32_e32 v79, 0x3f62ad3f, v78
	v_add_co_u32_e32 v4, vcc, v18, v4
	v_add_f32_e32 v2, v2, v79
	v_addc_co_u32_e32 v5, vcc, v19, v5, vcc
	v_mov_b32_e32 v11, v6
	global_store_dwordx2 v[4:5], v[2:3], off
	v_lshlrev_b64 v[2:3], 3, v[10:11]
	v_add_co_u32_e32 v2, vcc, v18, v2
	v_addc_co_u32_e32 v3, vcc, v19, v3, vcc
	global_store_dwordx2 v[2:3], v[0:1], off
.LBB0_23:
	s_endpgm
	.section	.rodata,"a",@progbits
	.p2align	6, 0x0
	.amdhsa_kernel fft_rtc_fwd_len2028_factors_13_4_3_13_wgs_156_tpt_156_sp_ip_CI_sbrr_dirReg
		.amdhsa_group_segment_fixed_size 0
		.amdhsa_private_segment_fixed_size 0
		.amdhsa_kernarg_size 88
		.amdhsa_user_sgpr_count 6
		.amdhsa_user_sgpr_private_segment_buffer 1
		.amdhsa_user_sgpr_dispatch_ptr 0
		.amdhsa_user_sgpr_queue_ptr 0
		.amdhsa_user_sgpr_kernarg_segment_ptr 1
		.amdhsa_user_sgpr_dispatch_id 0
		.amdhsa_user_sgpr_flat_scratch_init 0
		.amdhsa_user_sgpr_private_segment_size 0
		.amdhsa_uses_dynamic_stack 0
		.amdhsa_system_sgpr_private_segment_wavefront_offset 0
		.amdhsa_system_sgpr_workgroup_id_x 1
		.amdhsa_system_sgpr_workgroup_id_y 0
		.amdhsa_system_sgpr_workgroup_id_z 0
		.amdhsa_system_sgpr_workgroup_info 0
		.amdhsa_system_vgpr_workitem_id 0
		.amdhsa_next_free_vgpr 124
		.amdhsa_next_free_sgpr 24
		.amdhsa_reserve_vcc 1
		.amdhsa_reserve_flat_scratch 0
		.amdhsa_float_round_mode_32 0
		.amdhsa_float_round_mode_16_64 0
		.amdhsa_float_denorm_mode_32 3
		.amdhsa_float_denorm_mode_16_64 3
		.amdhsa_dx10_clamp 1
		.amdhsa_ieee_mode 1
		.amdhsa_fp16_overflow 0
		.amdhsa_exception_fp_ieee_invalid_op 0
		.amdhsa_exception_fp_denorm_src 0
		.amdhsa_exception_fp_ieee_div_zero 0
		.amdhsa_exception_fp_ieee_overflow 0
		.amdhsa_exception_fp_ieee_underflow 0
		.amdhsa_exception_fp_ieee_inexact 0
		.amdhsa_exception_int_div_zero 0
	.end_amdhsa_kernel
	.text
.Lfunc_end0:
	.size	fft_rtc_fwd_len2028_factors_13_4_3_13_wgs_156_tpt_156_sp_ip_CI_sbrr_dirReg, .Lfunc_end0-fft_rtc_fwd_len2028_factors_13_4_3_13_wgs_156_tpt_156_sp_ip_CI_sbrr_dirReg
                                        ; -- End function
	.section	.AMDGPU.csdata,"",@progbits
; Kernel info:
; codeLenInByte = 11204
; NumSgprs: 28
; NumVgprs: 124
; ScratchSize: 0
; MemoryBound: 0
; FloatMode: 240
; IeeeMode: 1
; LDSByteSize: 0 bytes/workgroup (compile time only)
; SGPRBlocks: 3
; VGPRBlocks: 30
; NumSGPRsForWavesPerEU: 28
; NumVGPRsForWavesPerEU: 124
; Occupancy: 2
; WaveLimiterHint : 1
; COMPUTE_PGM_RSRC2:SCRATCH_EN: 0
; COMPUTE_PGM_RSRC2:USER_SGPR: 6
; COMPUTE_PGM_RSRC2:TRAP_HANDLER: 0
; COMPUTE_PGM_RSRC2:TGID_X_EN: 1
; COMPUTE_PGM_RSRC2:TGID_Y_EN: 0
; COMPUTE_PGM_RSRC2:TGID_Z_EN: 0
; COMPUTE_PGM_RSRC2:TIDIG_COMP_CNT: 0
	.type	__hip_cuid_cc9145bf2115efa1,@object ; @__hip_cuid_cc9145bf2115efa1
	.section	.bss,"aw",@nobits
	.globl	__hip_cuid_cc9145bf2115efa1
__hip_cuid_cc9145bf2115efa1:
	.byte	0                               ; 0x0
	.size	__hip_cuid_cc9145bf2115efa1, 1

	.ident	"AMD clang version 19.0.0git (https://github.com/RadeonOpenCompute/llvm-project roc-6.4.0 25133 c7fe45cf4b819c5991fe208aaa96edf142730f1d)"
	.section	".note.GNU-stack","",@progbits
	.addrsig
	.addrsig_sym __hip_cuid_cc9145bf2115efa1
	.amdgpu_metadata
---
amdhsa.kernels:
  - .args:
      - .actual_access:  read_only
        .address_space:  global
        .offset:         0
        .size:           8
        .value_kind:     global_buffer
      - .offset:         8
        .size:           8
        .value_kind:     by_value
      - .actual_access:  read_only
        .address_space:  global
        .offset:         16
        .size:           8
        .value_kind:     global_buffer
      - .actual_access:  read_only
        .address_space:  global
        .offset:         24
        .size:           8
        .value_kind:     global_buffer
      - .offset:         32
        .size:           8
        .value_kind:     by_value
      - .actual_access:  read_only
        .address_space:  global
        .offset:         40
        .size:           8
        .value_kind:     global_buffer
      - .actual_access:  read_only
        .address_space:  global
        .offset:         48
        .size:           8
        .value_kind:     global_buffer
      - .offset:         56
        .size:           4
        .value_kind:     by_value
      - .actual_access:  read_only
        .address_space:  global
        .offset:         64
        .size:           8
        .value_kind:     global_buffer
      - .actual_access:  read_only
        .address_space:  global
        .offset:         72
        .size:           8
        .value_kind:     global_buffer
      - .address_space:  global
        .offset:         80
        .size:           8
        .value_kind:     global_buffer
    .group_segment_fixed_size: 0
    .kernarg_segment_align: 8
    .kernarg_segment_size: 88
    .language:       OpenCL C
    .language_version:
      - 2
      - 0
    .max_flat_workgroup_size: 156
    .name:           fft_rtc_fwd_len2028_factors_13_4_3_13_wgs_156_tpt_156_sp_ip_CI_sbrr_dirReg
    .private_segment_fixed_size: 0
    .sgpr_count:     28
    .sgpr_spill_count: 0
    .symbol:         fft_rtc_fwd_len2028_factors_13_4_3_13_wgs_156_tpt_156_sp_ip_CI_sbrr_dirReg.kd
    .uniform_work_group_size: 1
    .uses_dynamic_stack: false
    .vgpr_count:     124
    .vgpr_spill_count: 0
    .wavefront_size: 64
amdhsa.target:   amdgcn-amd-amdhsa--gfx906
amdhsa.version:
  - 1
  - 2
...

	.end_amdgpu_metadata
